;; amdgpu-corpus repo=ROCm/rocBLAS kind=compiled arch=gfx1100 opt=O3
	.text
	.amdgcn_target "amdgcn-amd-amdhsa--gfx1100"
	.amdhsa_code_object_version 6
	.section	.text._ZL26rocblas_dgmm_gfx942_kernelILi32ELi32ELb0EPKfPfEviiT2_lllS3_lllT3_lll,"axG",@progbits,_ZL26rocblas_dgmm_gfx942_kernelILi32ELi32ELb0EPKfPfEviiT2_lllS3_lllT3_lll,comdat
	.globl	_ZL26rocblas_dgmm_gfx942_kernelILi32ELi32ELb0EPKfPfEviiT2_lllS3_lllT3_lll ; -- Begin function _ZL26rocblas_dgmm_gfx942_kernelILi32ELi32ELb0EPKfPfEviiT2_lllS3_lllT3_lll
	.p2align	8
	.type	_ZL26rocblas_dgmm_gfx942_kernelILi32ELi32ELb0EPKfPfEviiT2_lllS3_lllT3_lll,@function
_ZL26rocblas_dgmm_gfx942_kernelILi32ELi32ELb0EPKfPfEviiT2_lllS3_lllT3_lll: ; @_ZL26rocblas_dgmm_gfx942_kernelILi32ELi32ELb0EPKfPfEviiT2_lllS3_lllT3_lll
; %bb.0:
	s_endpgm
	.section	.rodata,"a",@progbits
	.p2align	6, 0x0
	.amdhsa_kernel _ZL26rocblas_dgmm_gfx942_kernelILi32ELi32ELb0EPKfPfEviiT2_lllS3_lllT3_lll
		.amdhsa_group_segment_fixed_size 0
		.amdhsa_private_segment_fixed_size 0
		.amdhsa_kernarg_size 104
		.amdhsa_user_sgpr_count 15
		.amdhsa_user_sgpr_dispatch_ptr 0
		.amdhsa_user_sgpr_queue_ptr 0
		.amdhsa_user_sgpr_kernarg_segment_ptr 1
		.amdhsa_user_sgpr_dispatch_id 0
		.amdhsa_user_sgpr_private_segment_size 0
		.amdhsa_wavefront_size32 1
		.amdhsa_uses_dynamic_stack 0
		.amdhsa_enable_private_segment 0
		.amdhsa_system_sgpr_workgroup_id_x 1
		.amdhsa_system_sgpr_workgroup_id_y 0
		.amdhsa_system_sgpr_workgroup_id_z 0
		.amdhsa_system_sgpr_workgroup_info 0
		.amdhsa_system_vgpr_workitem_id 0
		.amdhsa_next_free_vgpr 1
		.amdhsa_next_free_sgpr 1
		.amdhsa_reserve_vcc 0
		.amdhsa_float_round_mode_32 0
		.amdhsa_float_round_mode_16_64 0
		.amdhsa_float_denorm_mode_32 3
		.amdhsa_float_denorm_mode_16_64 3
		.amdhsa_dx10_clamp 1
		.amdhsa_ieee_mode 1
		.amdhsa_fp16_overflow 0
		.amdhsa_workgroup_processor_mode 1
		.amdhsa_memory_ordered 1
		.amdhsa_forward_progress 0
		.amdhsa_shared_vgpr_count 0
		.amdhsa_exception_fp_ieee_invalid_op 0
		.amdhsa_exception_fp_denorm_src 0
		.amdhsa_exception_fp_ieee_div_zero 0
		.amdhsa_exception_fp_ieee_overflow 0
		.amdhsa_exception_fp_ieee_underflow 0
		.amdhsa_exception_fp_ieee_inexact 0
		.amdhsa_exception_int_div_zero 0
	.end_amdhsa_kernel
	.section	.text._ZL26rocblas_dgmm_gfx942_kernelILi32ELi32ELb0EPKfPfEviiT2_lllS3_lllT3_lll,"axG",@progbits,_ZL26rocblas_dgmm_gfx942_kernelILi32ELi32ELb0EPKfPfEviiT2_lllS3_lllT3_lll,comdat
.Lfunc_end0:
	.size	_ZL26rocblas_dgmm_gfx942_kernelILi32ELi32ELb0EPKfPfEviiT2_lllS3_lllT3_lll, .Lfunc_end0-_ZL26rocblas_dgmm_gfx942_kernelILi32ELi32ELb0EPKfPfEviiT2_lllS3_lllT3_lll
                                        ; -- End function
	.section	.AMDGPU.csdata,"",@progbits
; Kernel info:
; codeLenInByte = 4
; NumSgprs: 0
; NumVgprs: 0
; ScratchSize: 0
; MemoryBound: 0
; FloatMode: 240
; IeeeMode: 1
; LDSByteSize: 0 bytes/workgroup (compile time only)
; SGPRBlocks: 0
; VGPRBlocks: 0
; NumSGPRsForWavesPerEU: 1
; NumVGPRsForWavesPerEU: 1
; Occupancy: 16
; WaveLimiterHint : 0
; COMPUTE_PGM_RSRC2:SCRATCH_EN: 0
; COMPUTE_PGM_RSRC2:USER_SGPR: 15
; COMPUTE_PGM_RSRC2:TRAP_HANDLER: 0
; COMPUTE_PGM_RSRC2:TGID_X_EN: 1
; COMPUTE_PGM_RSRC2:TGID_Y_EN: 0
; COMPUTE_PGM_RSRC2:TGID_Z_EN: 0
; COMPUTE_PGM_RSRC2:TIDIG_COMP_CNT: 0
	.section	.text._ZL19rocblas_dgmm_kernelILi16ELi16ELb0EPKfPfEviiT2_lllS3_lllT3_llli,"axG",@progbits,_ZL19rocblas_dgmm_kernelILi16ELi16ELb0EPKfPfEviiT2_lllS3_lllT3_llli,comdat
	.globl	_ZL19rocblas_dgmm_kernelILi16ELi16ELb0EPKfPfEviiT2_lllS3_lllT3_llli ; -- Begin function _ZL19rocblas_dgmm_kernelILi16ELi16ELb0EPKfPfEviiT2_lllS3_lllT3_llli
	.p2align	8
	.type	_ZL19rocblas_dgmm_kernelILi16ELi16ELb0EPKfPfEviiT2_lllS3_lllT3_llli,@function
_ZL19rocblas_dgmm_kernelILi16ELi16ELb0EPKfPfEviiT2_lllS3_lllT3_llli: ; @_ZL19rocblas_dgmm_kernelILi16ELi16ELb0EPKfPfEviiT2_lllS3_lllT3_llli
; %bb.0:
	s_load_b64 s[2:3], s[0:1], 0x0
	v_and_b32_e32 v1, 0x3ff, v0
	v_bfe_u32 v2, v0, 10, 10
	s_delay_alu instid0(VALU_DEP_2) | instskip(NEXT) | instid1(VALU_DEP_2)
	v_lshl_add_u32 v0, s13, 4, v1
	v_lshl_add_u32 v2, s14, 4, v2
	s_waitcnt lgkmcnt(0)
	s_delay_alu instid0(VALU_DEP_2) | instskip(NEXT) | instid1(VALU_DEP_2)
	v_cmp_gt_i32_e32 vcc_lo, s2, v0
	v_cmp_gt_i32_e64 s2, s3, v2
	s_delay_alu instid0(VALU_DEP_1) | instskip(NEXT) | instid1(SALU_CYCLE_1)
	s_and_b32 s2, vcc_lo, s2
	s_and_saveexec_b32 s4, s2
	s_cbranch_execz .LBB1_3
; %bb.1:
	s_clause 0x1
	s_load_b256 s[4:11], s[0:1], 0x48
	s_load_b512 s[16:31], s[0:1], 0x8
	v_ashrrev_i32_e32 v1, 31, v0
	s_load_b32 s2, s[0:1], 0x74
	s_delay_alu instid0(VALU_DEP_1)
	v_lshlrev_b64 v[5:6], 2, v[0:1]
	s_waitcnt lgkmcnt(0)
	s_lshl_b64 s[0:1], s[6:7], 2
	s_mul_i32 s7, s15, s23
	s_add_u32 s23, s4, s0
	v_mul_lo_u32 v7, v0, s29
	s_addc_u32 s29, s5, s1
	s_lshl_b64 s[0:1], s[26:27], 2
	v_mul_lo_u32 v1, v1, s28
	v_mad_u64_u32 v[3:4], null, v0, s28, 0
	s_add_u32 s5, s24, s0
	s_addc_u32 s24, s25, s1
	s_lshl_b64 s[0:1], s[18:19], 2
	s_mul_hi_u32 s13, s15, s22
	s_add_u32 s4, s16, s0
	s_mul_i32 s6, s15, s22
	s_addc_u32 s16, s17, s1
	s_add_i32 s7, s13, s7
	v_add3_u32 v4, v4, v7, v1
	s_lshl_b64 s[0:1], s[6:7], 2
	s_mul_i32 s14, s15, s31
	s_mul_hi_u32 s22, s15, s30
	s_add_u32 s7, s4, s0
	s_mul_i32 s12, s15, s30
	s_addc_u32 s16, s16, s1
	s_add_i32 s13, s22, s14
	v_lshlrev_b64 v[0:1], 2, v[3:4]
	s_lshl_b64 s[0:1], s[12:13], 2
	s_mul_i32 s11, s15, s11
	s_mul_hi_u32 s6, s15, s10
	s_mul_i32 s4, s15, s10
	s_add_u32 s10, s5, s0
	s_addc_u32 s12, s24, s1
	s_add_i32 s5, s6, s11
	v_add_co_u32 v3, vcc_lo, s7, v5
	s_lshl_b64 s[0:1], s[4:5], 2
	v_add_co_ci_u32_e32 v4, vcc_lo, s16, v6, vcc_lo
	v_add_co_u32 v0, vcc_lo, s10, v0
	s_add_u32 s0, s23, s0
	v_add_co_ci_u32_e32 v1, vcc_lo, s12, v1, vcc_lo
	s_addc_u32 s1, s29, s1
	v_add_co_u32 v5, vcc_lo, s0, v5
	v_add_co_ci_u32_e32 v6, vcc_lo, s1, v6, vcc_lo
	s_lshl_b32 s1, s2, 4
	s_mov_b32 s2, 0
	s_set_inst_prefetch_distance 0x1
	.p2align	6
.LBB1_2:                                ; =>This Inner Loop Header: Depth=1
	v_ashrrev_i32_e32 v9, 31, v2
	v_mul_lo_u32 v10, v2, s21
	v_mad_u64_u32 v[7:8], null, v2, s20, 0
	v_mul_lo_u32 v12, v2, s9
	s_delay_alu instid0(VALU_DEP_4) | instskip(SKIP_1) | instid1(VALU_DEP_2)
	v_mul_lo_u32 v11, v9, s20
	v_mul_lo_u32 v9, v9, s8
	v_add3_u32 v8, v8, v10, v11
	s_delay_alu instid0(VALU_DEP_1) | instskip(NEXT) | instid1(VALU_DEP_1)
	v_lshlrev_b64 v[7:8], 2, v[7:8]
	v_add_co_u32 v7, vcc_lo, v3, v7
	s_delay_alu instid0(VALU_DEP_2) | instskip(SKIP_4) | instid1(VALU_DEP_1)
	v_add_co_ci_u32_e32 v8, vcc_lo, v4, v8, vcc_lo
	global_load_b32 v10, v[0:1], off
	global_load_b32 v11, v[7:8], off
	v_mad_u64_u32 v[7:8], null, v2, s8, 0
	v_add_nc_u32_e32 v2, s1, v2
	v_cmp_le_i32_e32 vcc_lo, s3, v2
	s_delay_alu instid0(VALU_DEP_3) | instskip(SKIP_1) | instid1(VALU_DEP_1)
	v_add3_u32 v8, v8, v12, v9
	s_or_b32 s2, vcc_lo, s2
	v_lshlrev_b64 v[7:8], 2, v[7:8]
	s_delay_alu instid0(VALU_DEP_1) | instskip(NEXT) | instid1(VALU_DEP_1)
	v_add_co_u32 v7, s0, v5, v7
	v_add_co_ci_u32_e64 v8, s0, v6, v8, s0
	s_waitcnt vmcnt(0)
	v_mul_f32_e32 v9, v11, v10
	global_store_b32 v[7:8], v9, off
	s_and_not1_b32 exec_lo, exec_lo, s2
	s_cbranch_execnz .LBB1_2
.LBB1_3:
	s_set_inst_prefetch_distance 0x2
	s_nop 0
	s_sendmsg sendmsg(MSG_DEALLOC_VGPRS)
	s_endpgm
	.section	.rodata,"a",@progbits
	.p2align	6, 0x0
	.amdhsa_kernel _ZL19rocblas_dgmm_kernelILi16ELi16ELb0EPKfPfEviiT2_lllS3_lllT3_llli
		.amdhsa_group_segment_fixed_size 0
		.amdhsa_private_segment_fixed_size 0
		.amdhsa_kernarg_size 368
		.amdhsa_user_sgpr_count 13
		.amdhsa_user_sgpr_dispatch_ptr 0
		.amdhsa_user_sgpr_queue_ptr 0
		.amdhsa_user_sgpr_kernarg_segment_ptr 1
		.amdhsa_user_sgpr_dispatch_id 0
		.amdhsa_user_sgpr_private_segment_size 0
		.amdhsa_wavefront_size32 1
		.amdhsa_uses_dynamic_stack 0
		.amdhsa_enable_private_segment 0
		.amdhsa_system_sgpr_workgroup_id_x 1
		.amdhsa_system_sgpr_workgroup_id_y 1
		.amdhsa_system_sgpr_workgroup_id_z 1
		.amdhsa_system_sgpr_workgroup_info 0
		.amdhsa_system_vgpr_workitem_id 1
		.amdhsa_next_free_vgpr 13
		.amdhsa_next_free_sgpr 32
		.amdhsa_reserve_vcc 1
		.amdhsa_float_round_mode_32 0
		.amdhsa_float_round_mode_16_64 0
		.amdhsa_float_denorm_mode_32 3
		.amdhsa_float_denorm_mode_16_64 3
		.amdhsa_dx10_clamp 1
		.amdhsa_ieee_mode 1
		.amdhsa_fp16_overflow 0
		.amdhsa_workgroup_processor_mode 1
		.amdhsa_memory_ordered 1
		.amdhsa_forward_progress 0
		.amdhsa_shared_vgpr_count 0
		.amdhsa_exception_fp_ieee_invalid_op 0
		.amdhsa_exception_fp_denorm_src 0
		.amdhsa_exception_fp_ieee_div_zero 0
		.amdhsa_exception_fp_ieee_overflow 0
		.amdhsa_exception_fp_ieee_underflow 0
		.amdhsa_exception_fp_ieee_inexact 0
		.amdhsa_exception_int_div_zero 0
	.end_amdhsa_kernel
	.section	.text._ZL19rocblas_dgmm_kernelILi16ELi16ELb0EPKfPfEviiT2_lllS3_lllT3_llli,"axG",@progbits,_ZL19rocblas_dgmm_kernelILi16ELi16ELb0EPKfPfEviiT2_lllS3_lllT3_llli,comdat
.Lfunc_end1:
	.size	_ZL19rocblas_dgmm_kernelILi16ELi16ELb0EPKfPfEviiT2_lllS3_lllT3_llli, .Lfunc_end1-_ZL19rocblas_dgmm_kernelILi16ELi16ELb0EPKfPfEviiT2_lllS3_lllT3_llli
                                        ; -- End function
	.section	.AMDGPU.csdata,"",@progbits
; Kernel info:
; codeLenInByte = 536
; NumSgprs: 34
; NumVgprs: 13
; ScratchSize: 0
; MemoryBound: 0
; FloatMode: 240
; IeeeMode: 1
; LDSByteSize: 0 bytes/workgroup (compile time only)
; SGPRBlocks: 4
; VGPRBlocks: 1
; NumSGPRsForWavesPerEU: 34
; NumVGPRsForWavesPerEU: 13
; Occupancy: 16
; WaveLimiterHint : 0
; COMPUTE_PGM_RSRC2:SCRATCH_EN: 0
; COMPUTE_PGM_RSRC2:USER_SGPR: 13
; COMPUTE_PGM_RSRC2:TRAP_HANDLER: 0
; COMPUTE_PGM_RSRC2:TGID_X_EN: 1
; COMPUTE_PGM_RSRC2:TGID_Y_EN: 1
; COMPUTE_PGM_RSRC2:TGID_Z_EN: 1
; COMPUTE_PGM_RSRC2:TIDIG_COMP_CNT: 1
	.section	.text._ZL26rocblas_dgmm_gfx942_kernelILi32ELi32ELb1EPKfPfEviiT2_lllS3_lllT3_lll,"axG",@progbits,_ZL26rocblas_dgmm_gfx942_kernelILi32ELi32ELb1EPKfPfEviiT2_lllS3_lllT3_lll,comdat
	.globl	_ZL26rocblas_dgmm_gfx942_kernelILi32ELi32ELb1EPKfPfEviiT2_lllS3_lllT3_lll ; -- Begin function _ZL26rocblas_dgmm_gfx942_kernelILi32ELi32ELb1EPKfPfEviiT2_lllS3_lllT3_lll
	.p2align	8
	.type	_ZL26rocblas_dgmm_gfx942_kernelILi32ELi32ELb1EPKfPfEviiT2_lllS3_lllT3_lll,@function
_ZL26rocblas_dgmm_gfx942_kernelILi32ELi32ELb1EPKfPfEviiT2_lllS3_lllT3_lll: ; @_ZL26rocblas_dgmm_gfx942_kernelILi32ELi32ELb1EPKfPfEviiT2_lllS3_lllT3_lll
; %bb.0:
	s_endpgm
	.section	.rodata,"a",@progbits
	.p2align	6, 0x0
	.amdhsa_kernel _ZL26rocblas_dgmm_gfx942_kernelILi32ELi32ELb1EPKfPfEviiT2_lllS3_lllT3_lll
		.amdhsa_group_segment_fixed_size 0
		.amdhsa_private_segment_fixed_size 0
		.amdhsa_kernarg_size 104
		.amdhsa_user_sgpr_count 15
		.amdhsa_user_sgpr_dispatch_ptr 0
		.amdhsa_user_sgpr_queue_ptr 0
		.amdhsa_user_sgpr_kernarg_segment_ptr 1
		.amdhsa_user_sgpr_dispatch_id 0
		.amdhsa_user_sgpr_private_segment_size 0
		.amdhsa_wavefront_size32 1
		.amdhsa_uses_dynamic_stack 0
		.amdhsa_enable_private_segment 0
		.amdhsa_system_sgpr_workgroup_id_x 1
		.amdhsa_system_sgpr_workgroup_id_y 0
		.amdhsa_system_sgpr_workgroup_id_z 0
		.amdhsa_system_sgpr_workgroup_info 0
		.amdhsa_system_vgpr_workitem_id 0
		.amdhsa_next_free_vgpr 1
		.amdhsa_next_free_sgpr 1
		.amdhsa_reserve_vcc 0
		.amdhsa_float_round_mode_32 0
		.amdhsa_float_round_mode_16_64 0
		.amdhsa_float_denorm_mode_32 3
		.amdhsa_float_denorm_mode_16_64 3
		.amdhsa_dx10_clamp 1
		.amdhsa_ieee_mode 1
		.amdhsa_fp16_overflow 0
		.amdhsa_workgroup_processor_mode 1
		.amdhsa_memory_ordered 1
		.amdhsa_forward_progress 0
		.amdhsa_shared_vgpr_count 0
		.amdhsa_exception_fp_ieee_invalid_op 0
		.amdhsa_exception_fp_denorm_src 0
		.amdhsa_exception_fp_ieee_div_zero 0
		.amdhsa_exception_fp_ieee_overflow 0
		.amdhsa_exception_fp_ieee_underflow 0
		.amdhsa_exception_fp_ieee_inexact 0
		.amdhsa_exception_int_div_zero 0
	.end_amdhsa_kernel
	.section	.text._ZL26rocblas_dgmm_gfx942_kernelILi32ELi32ELb1EPKfPfEviiT2_lllS3_lllT3_lll,"axG",@progbits,_ZL26rocblas_dgmm_gfx942_kernelILi32ELi32ELb1EPKfPfEviiT2_lllS3_lllT3_lll,comdat
.Lfunc_end2:
	.size	_ZL26rocblas_dgmm_gfx942_kernelILi32ELi32ELb1EPKfPfEviiT2_lllS3_lllT3_lll, .Lfunc_end2-_ZL26rocblas_dgmm_gfx942_kernelILi32ELi32ELb1EPKfPfEviiT2_lllS3_lllT3_lll
                                        ; -- End function
	.section	.AMDGPU.csdata,"",@progbits
; Kernel info:
; codeLenInByte = 4
; NumSgprs: 0
; NumVgprs: 0
; ScratchSize: 0
; MemoryBound: 0
; FloatMode: 240
; IeeeMode: 1
; LDSByteSize: 0 bytes/workgroup (compile time only)
; SGPRBlocks: 0
; VGPRBlocks: 0
; NumSGPRsForWavesPerEU: 1
; NumVGPRsForWavesPerEU: 1
; Occupancy: 16
; WaveLimiterHint : 0
; COMPUTE_PGM_RSRC2:SCRATCH_EN: 0
; COMPUTE_PGM_RSRC2:USER_SGPR: 15
; COMPUTE_PGM_RSRC2:TRAP_HANDLER: 0
; COMPUTE_PGM_RSRC2:TGID_X_EN: 1
; COMPUTE_PGM_RSRC2:TGID_Y_EN: 0
; COMPUTE_PGM_RSRC2:TGID_Z_EN: 0
; COMPUTE_PGM_RSRC2:TIDIG_COMP_CNT: 0
	.section	.text._ZL19rocblas_dgmm_kernelILi16ELi16ELb1EPKfPfEviiT2_lllS3_lllT3_llli,"axG",@progbits,_ZL19rocblas_dgmm_kernelILi16ELi16ELb1EPKfPfEviiT2_lllS3_lllT3_llli,comdat
	.globl	_ZL19rocblas_dgmm_kernelILi16ELi16ELb1EPKfPfEviiT2_lllS3_lllT3_llli ; -- Begin function _ZL19rocblas_dgmm_kernelILi16ELi16ELb1EPKfPfEviiT2_lllS3_lllT3_llli
	.p2align	8
	.type	_ZL19rocblas_dgmm_kernelILi16ELi16ELb1EPKfPfEviiT2_lllS3_lllT3_llli,@function
_ZL19rocblas_dgmm_kernelILi16ELi16ELb1EPKfPfEviiT2_lllS3_lllT3_llli: ; @_ZL19rocblas_dgmm_kernelILi16ELi16ELb1EPKfPfEviiT2_lllS3_lllT3_llli
; %bb.0:
	s_load_b64 s[2:3], s[0:1], 0x0
	v_and_b32_e32 v1, 0x3ff, v0
	v_bfe_u32 v2, v0, 10, 10
	s_delay_alu instid0(VALU_DEP_2) | instskip(NEXT) | instid1(VALU_DEP_2)
	v_lshl_add_u32 v0, s13, 4, v1
	v_lshl_add_u32 v2, s14, 4, v2
	s_waitcnt lgkmcnt(0)
	s_delay_alu instid0(VALU_DEP_2) | instskip(NEXT) | instid1(VALU_DEP_2)
	v_cmp_gt_i32_e32 vcc_lo, s2, v0
	v_cmp_gt_i32_e64 s2, s3, v2
	s_delay_alu instid0(VALU_DEP_1) | instskip(NEXT) | instid1(SALU_CYCLE_1)
	s_and_b32 s2, vcc_lo, s2
	s_and_saveexec_b32 s4, s2
	s_cbranch_execz .LBB3_3
; %bb.1:
	s_clause 0x2
	s_load_b256 s[4:11], s[0:1], 0x48
	s_load_b512 s[16:31], s[0:1], 0x8
	s_load_b32 s12, s[0:1], 0x74
	v_ashrrev_i32_e32 v1, 31, v0
	s_delay_alu instid0(VALU_DEP_1)
	v_lshlrev_b64 v[3:4], 2, v[0:1]
	s_waitcnt lgkmcnt(0)
	s_lshl_b64 s[0:1], s[6:7], 2
	s_mul_i32 s2, s15, s23
	s_add_u32 s13, s4, s0
	s_addc_u32 s14, s5, s1
	s_lshl_b64 s[0:1], s[26:27], 2
	s_mul_hi_u32 s7, s15, s22
	s_add_u32 s23, s24, s0
	s_addc_u32 s24, s25, s1
	s_lshl_b64 s[0:1], s[18:19], 2
	s_mul_i32 s6, s15, s22
	s_add_u32 s16, s16, s0
	s_addc_u32 s1, s17, s1
	s_add_i32 s7, s7, s2
	s_mul_i32 s22, s15, s31
	s_lshl_b64 s[4:5], s[6:7], 2
	s_mul_hi_u32 s18, s15, s30
	s_mul_i32 s7, s15, s11
	s_add_u32 s11, s16, s4
	s_mul_i32 s0, s15, s30
	s_addc_u32 s16, s1, s5
	s_add_i32 s1, s18, s22
	s_mul_hi_u32 s17, s15, s10
	s_lshl_b64 s[4:5], s[0:1], 2
	s_mul_i32 s6, s15, s10
	s_add_u32 s1, s23, s4
	s_addc_u32 s2, s24, s5
	s_add_i32 s7, s17, s7
	v_add_co_u32 v0, vcc_lo, s11, v3
	s_lshl_b64 s[4:5], s[6:7], 2
	v_add_co_ci_u32_e32 v1, vcc_lo, s16, v4, vcc_lo
	s_add_u32 s0, s13, s4
	s_addc_u32 s4, s14, s5
	v_add_co_u32 v3, vcc_lo, s0, v3
	v_add_co_ci_u32_e32 v4, vcc_lo, s4, v4, vcc_lo
	s_lshl_b32 s4, s12, 4
	s_mov_b32 s5, 0
.LBB3_2:                                ; =>This Inner Loop Header: Depth=1
	v_ashrrev_i32_e32 v9, 31, v2
	v_mul_lo_u32 v10, v2, s21
	v_mad_u64_u32 v[5:6], null, v2, s20, 0
	v_mul_lo_u32 v11, v2, s29
	s_delay_alu instid0(VALU_DEP_4) | instskip(SKIP_3) | instid1(VALU_DEP_4)
	v_mul_lo_u32 v12, v9, s20
	v_mad_u64_u32 v[7:8], null, v2, s28, 0
	v_mul_lo_u32 v13, v9, s28
	v_mul_lo_u32 v9, v9, s8
	v_add3_u32 v6, v6, v10, v12
	s_delay_alu instid0(VALU_DEP_3) | instskip(NEXT) | instid1(VALU_DEP_2)
	v_add3_u32 v8, v8, v11, v13
	v_lshlrev_b64 v[5:6], 2, v[5:6]
	s_delay_alu instid0(VALU_DEP_2) | instskip(NEXT) | instid1(VALU_DEP_2)
	v_lshlrev_b64 v[7:8], 2, v[7:8]
	v_add_co_u32 v5, vcc_lo, v0, v5
	s_delay_alu instid0(VALU_DEP_3) | instskip(NEXT) | instid1(VALU_DEP_3)
	v_add_co_ci_u32_e32 v6, vcc_lo, v1, v6, vcc_lo
	v_add_co_u32 v7, vcc_lo, s1, v7
	s_delay_alu instid0(VALU_DEP_4)
	v_add_co_ci_u32_e32 v8, vcc_lo, s2, v8, vcc_lo
	global_load_b32 v10, v[5:6], off
	global_load_b32 v7, v[7:8], off
	v_mul_lo_u32 v8, v2, s9
	v_mad_u64_u32 v[5:6], null, v2, s8, 0
	v_add_nc_u32_e32 v2, s4, v2
	s_delay_alu instid0(VALU_DEP_2) | instskip(NEXT) | instid1(VALU_DEP_1)
	v_add3_u32 v6, v6, v8, v9
	v_lshlrev_b64 v[5:6], 2, v[5:6]
	s_delay_alu instid0(VALU_DEP_1) | instskip(NEXT) | instid1(VALU_DEP_1)
	v_add_co_u32 v5, s0, v3, v5
	v_add_co_ci_u32_e64 v6, s0, v4, v6, s0
	s_waitcnt vmcnt(0)
	v_mul_f32_e32 v7, v10, v7
	v_cmp_le_i32_e32 vcc_lo, s3, v2
	global_store_b32 v[5:6], v7, off
	s_or_b32 s5, vcc_lo, s5
	s_delay_alu instid0(SALU_CYCLE_1)
	s_and_not1_b32 exec_lo, exec_lo, s5
	s_cbranch_execnz .LBB3_2
.LBB3_3:
	s_nop 0
	s_sendmsg sendmsg(MSG_DEALLOC_VGPRS)
	s_endpgm
	.section	.rodata,"a",@progbits
	.p2align	6, 0x0
	.amdhsa_kernel _ZL19rocblas_dgmm_kernelILi16ELi16ELb1EPKfPfEviiT2_lllS3_lllT3_llli
		.amdhsa_group_segment_fixed_size 0
		.amdhsa_private_segment_fixed_size 0
		.amdhsa_kernarg_size 368
		.amdhsa_user_sgpr_count 13
		.amdhsa_user_sgpr_dispatch_ptr 0
		.amdhsa_user_sgpr_queue_ptr 0
		.amdhsa_user_sgpr_kernarg_segment_ptr 1
		.amdhsa_user_sgpr_dispatch_id 0
		.amdhsa_user_sgpr_private_segment_size 0
		.amdhsa_wavefront_size32 1
		.amdhsa_uses_dynamic_stack 0
		.amdhsa_enable_private_segment 0
		.amdhsa_system_sgpr_workgroup_id_x 1
		.amdhsa_system_sgpr_workgroup_id_y 1
		.amdhsa_system_sgpr_workgroup_id_z 1
		.amdhsa_system_sgpr_workgroup_info 0
		.amdhsa_system_vgpr_workitem_id 1
		.amdhsa_next_free_vgpr 14
		.amdhsa_next_free_sgpr 32
		.amdhsa_reserve_vcc 1
		.amdhsa_float_round_mode_32 0
		.amdhsa_float_round_mode_16_64 0
		.amdhsa_float_denorm_mode_32 3
		.amdhsa_float_denorm_mode_16_64 3
		.amdhsa_dx10_clamp 1
		.amdhsa_ieee_mode 1
		.amdhsa_fp16_overflow 0
		.amdhsa_workgroup_processor_mode 1
		.amdhsa_memory_ordered 1
		.amdhsa_forward_progress 0
		.amdhsa_shared_vgpr_count 0
		.amdhsa_exception_fp_ieee_invalid_op 0
		.amdhsa_exception_fp_denorm_src 0
		.amdhsa_exception_fp_ieee_div_zero 0
		.amdhsa_exception_fp_ieee_overflow 0
		.amdhsa_exception_fp_ieee_underflow 0
		.amdhsa_exception_fp_ieee_inexact 0
		.amdhsa_exception_int_div_zero 0
	.end_amdhsa_kernel
	.section	.text._ZL19rocblas_dgmm_kernelILi16ELi16ELb1EPKfPfEviiT2_lllS3_lllT3_llli,"axG",@progbits,_ZL19rocblas_dgmm_kernelILi16ELi16ELb1EPKfPfEviiT2_lllS3_lllT3_llli,comdat
.Lfunc_end3:
	.size	_ZL19rocblas_dgmm_kernelILi16ELi16ELb1EPKfPfEviiT2_lllS3_lllT3_llli, .Lfunc_end3-_ZL19rocblas_dgmm_kernelILi16ELi16ELb1EPKfPfEviiT2_lllS3_lllT3_llli
                                        ; -- End function
	.section	.AMDGPU.csdata,"",@progbits
; Kernel info:
; codeLenInByte = 540
; NumSgprs: 34
; NumVgprs: 14
; ScratchSize: 0
; MemoryBound: 0
; FloatMode: 240
; IeeeMode: 1
; LDSByteSize: 0 bytes/workgroup (compile time only)
; SGPRBlocks: 4
; VGPRBlocks: 1
; NumSGPRsForWavesPerEU: 34
; NumVGPRsForWavesPerEU: 14
; Occupancy: 16
; WaveLimiterHint : 0
; COMPUTE_PGM_RSRC2:SCRATCH_EN: 0
; COMPUTE_PGM_RSRC2:USER_SGPR: 13
; COMPUTE_PGM_RSRC2:TRAP_HANDLER: 0
; COMPUTE_PGM_RSRC2:TGID_X_EN: 1
; COMPUTE_PGM_RSRC2:TGID_Y_EN: 1
; COMPUTE_PGM_RSRC2:TGID_Z_EN: 1
; COMPUTE_PGM_RSRC2:TIDIG_COMP_CNT: 1
	.section	.text._ZL26rocblas_dgmm_gfx942_kernelILi32ELi32ELb0EPKdPdEviiT2_lllS3_lllT3_lll,"axG",@progbits,_ZL26rocblas_dgmm_gfx942_kernelILi32ELi32ELb0EPKdPdEviiT2_lllS3_lllT3_lll,comdat
	.globl	_ZL26rocblas_dgmm_gfx942_kernelILi32ELi32ELb0EPKdPdEviiT2_lllS3_lllT3_lll ; -- Begin function _ZL26rocblas_dgmm_gfx942_kernelILi32ELi32ELb0EPKdPdEviiT2_lllS3_lllT3_lll
	.p2align	8
	.type	_ZL26rocblas_dgmm_gfx942_kernelILi32ELi32ELb0EPKdPdEviiT2_lllS3_lllT3_lll,@function
_ZL26rocblas_dgmm_gfx942_kernelILi32ELi32ELb0EPKdPdEviiT2_lllS3_lllT3_lll: ; @_ZL26rocblas_dgmm_gfx942_kernelILi32ELi32ELb0EPKdPdEviiT2_lllS3_lllT3_lll
; %bb.0:
	s_endpgm
	.section	.rodata,"a",@progbits
	.p2align	6, 0x0
	.amdhsa_kernel _ZL26rocblas_dgmm_gfx942_kernelILi32ELi32ELb0EPKdPdEviiT2_lllS3_lllT3_lll
		.amdhsa_group_segment_fixed_size 0
		.amdhsa_private_segment_fixed_size 0
		.amdhsa_kernarg_size 104
		.amdhsa_user_sgpr_count 15
		.amdhsa_user_sgpr_dispatch_ptr 0
		.amdhsa_user_sgpr_queue_ptr 0
		.amdhsa_user_sgpr_kernarg_segment_ptr 1
		.amdhsa_user_sgpr_dispatch_id 0
		.amdhsa_user_sgpr_private_segment_size 0
		.amdhsa_wavefront_size32 1
		.amdhsa_uses_dynamic_stack 0
		.amdhsa_enable_private_segment 0
		.amdhsa_system_sgpr_workgroup_id_x 1
		.amdhsa_system_sgpr_workgroup_id_y 0
		.amdhsa_system_sgpr_workgroup_id_z 0
		.amdhsa_system_sgpr_workgroup_info 0
		.amdhsa_system_vgpr_workitem_id 0
		.amdhsa_next_free_vgpr 1
		.amdhsa_next_free_sgpr 1
		.amdhsa_reserve_vcc 0
		.amdhsa_float_round_mode_32 0
		.amdhsa_float_round_mode_16_64 0
		.amdhsa_float_denorm_mode_32 3
		.amdhsa_float_denorm_mode_16_64 3
		.amdhsa_dx10_clamp 1
		.amdhsa_ieee_mode 1
		.amdhsa_fp16_overflow 0
		.amdhsa_workgroup_processor_mode 1
		.amdhsa_memory_ordered 1
		.amdhsa_forward_progress 0
		.amdhsa_shared_vgpr_count 0
		.amdhsa_exception_fp_ieee_invalid_op 0
		.amdhsa_exception_fp_denorm_src 0
		.amdhsa_exception_fp_ieee_div_zero 0
		.amdhsa_exception_fp_ieee_overflow 0
		.amdhsa_exception_fp_ieee_underflow 0
		.amdhsa_exception_fp_ieee_inexact 0
		.amdhsa_exception_int_div_zero 0
	.end_amdhsa_kernel
	.section	.text._ZL26rocblas_dgmm_gfx942_kernelILi32ELi32ELb0EPKdPdEviiT2_lllS3_lllT3_lll,"axG",@progbits,_ZL26rocblas_dgmm_gfx942_kernelILi32ELi32ELb0EPKdPdEviiT2_lllS3_lllT3_lll,comdat
.Lfunc_end4:
	.size	_ZL26rocblas_dgmm_gfx942_kernelILi32ELi32ELb0EPKdPdEviiT2_lllS3_lllT3_lll, .Lfunc_end4-_ZL26rocblas_dgmm_gfx942_kernelILi32ELi32ELb0EPKdPdEviiT2_lllS3_lllT3_lll
                                        ; -- End function
	.section	.AMDGPU.csdata,"",@progbits
; Kernel info:
; codeLenInByte = 4
; NumSgprs: 0
; NumVgprs: 0
; ScratchSize: 0
; MemoryBound: 0
; FloatMode: 240
; IeeeMode: 1
; LDSByteSize: 0 bytes/workgroup (compile time only)
; SGPRBlocks: 0
; VGPRBlocks: 0
; NumSGPRsForWavesPerEU: 1
; NumVGPRsForWavesPerEU: 1
; Occupancy: 16
; WaveLimiterHint : 0
; COMPUTE_PGM_RSRC2:SCRATCH_EN: 0
; COMPUTE_PGM_RSRC2:USER_SGPR: 15
; COMPUTE_PGM_RSRC2:TRAP_HANDLER: 0
; COMPUTE_PGM_RSRC2:TGID_X_EN: 1
; COMPUTE_PGM_RSRC2:TGID_Y_EN: 0
; COMPUTE_PGM_RSRC2:TGID_Z_EN: 0
; COMPUTE_PGM_RSRC2:TIDIG_COMP_CNT: 0
	.section	.text._ZL19rocblas_dgmm_kernelILi16ELi16ELb0EPKdPdEviiT2_lllS3_lllT3_llli,"axG",@progbits,_ZL19rocblas_dgmm_kernelILi16ELi16ELb0EPKdPdEviiT2_lllS3_lllT3_llli,comdat
	.globl	_ZL19rocblas_dgmm_kernelILi16ELi16ELb0EPKdPdEviiT2_lllS3_lllT3_llli ; -- Begin function _ZL19rocblas_dgmm_kernelILi16ELi16ELb0EPKdPdEviiT2_lllS3_lllT3_llli
	.p2align	8
	.type	_ZL19rocblas_dgmm_kernelILi16ELi16ELb0EPKdPdEviiT2_lllS3_lllT3_llli,@function
_ZL19rocblas_dgmm_kernelILi16ELi16ELb0EPKdPdEviiT2_lllS3_lllT3_llli: ; @_ZL19rocblas_dgmm_kernelILi16ELi16ELb0EPKdPdEviiT2_lllS3_lllT3_llli
; %bb.0:
	s_load_b64 s[2:3], s[0:1], 0x0
	v_and_b32_e32 v1, 0x3ff, v0
	v_bfe_u32 v2, v0, 10, 10
	s_delay_alu instid0(VALU_DEP_2) | instskip(NEXT) | instid1(VALU_DEP_2)
	v_lshl_add_u32 v0, s13, 4, v1
	v_lshl_add_u32 v2, s14, 4, v2
	s_waitcnt lgkmcnt(0)
	s_delay_alu instid0(VALU_DEP_2) | instskip(NEXT) | instid1(VALU_DEP_2)
	v_cmp_gt_i32_e32 vcc_lo, s2, v0
	v_cmp_gt_i32_e64 s2, s3, v2
	s_delay_alu instid0(VALU_DEP_1) | instskip(NEXT) | instid1(SALU_CYCLE_1)
	s_and_b32 s2, vcc_lo, s2
	s_and_saveexec_b32 s4, s2
	s_cbranch_execz .LBB5_3
; %bb.1:
	s_clause 0x1
	s_load_b256 s[4:11], s[0:1], 0x48
	s_load_b512 s[16:31], s[0:1], 0x8
	v_ashrrev_i32_e32 v1, 31, v0
	s_load_b32 s2, s[0:1], 0x74
	s_delay_alu instid0(VALU_DEP_1)
	v_lshlrev_b64 v[5:6], 3, v[0:1]
	s_waitcnt lgkmcnt(0)
	s_lshl_b64 s[0:1], s[6:7], 3
	s_mul_i32 s7, s15, s23
	s_add_u32 s23, s4, s0
	v_mul_lo_u32 v7, v0, s29
	s_addc_u32 s29, s5, s1
	s_lshl_b64 s[0:1], s[26:27], 3
	v_mul_lo_u32 v1, v1, s28
	v_mad_u64_u32 v[3:4], null, v0, s28, 0
	s_add_u32 s5, s24, s0
	s_addc_u32 s24, s25, s1
	s_lshl_b64 s[0:1], s[18:19], 3
	s_mul_hi_u32 s13, s15, s22
	s_add_u32 s4, s16, s0
	s_mul_i32 s6, s15, s22
	s_addc_u32 s16, s17, s1
	s_add_i32 s7, s13, s7
	v_add3_u32 v4, v4, v7, v1
	s_lshl_b64 s[0:1], s[6:7], 3
	s_mul_i32 s14, s15, s31
	s_mul_hi_u32 s22, s15, s30
	s_add_u32 s7, s4, s0
	s_mul_i32 s12, s15, s30
	s_addc_u32 s16, s16, s1
	s_add_i32 s13, s22, s14
	v_lshlrev_b64 v[0:1], 3, v[3:4]
	s_lshl_b64 s[0:1], s[12:13], 3
	s_mul_i32 s11, s15, s11
	s_mul_hi_u32 s6, s15, s10
	s_mul_i32 s4, s15, s10
	s_add_u32 s10, s5, s0
	s_addc_u32 s12, s24, s1
	s_add_i32 s5, s6, s11
	v_add_co_u32 v3, vcc_lo, s7, v5
	s_lshl_b64 s[0:1], s[4:5], 3
	v_add_co_ci_u32_e32 v4, vcc_lo, s16, v6, vcc_lo
	v_add_co_u32 v0, vcc_lo, s10, v0
	s_add_u32 s0, s23, s0
	v_add_co_ci_u32_e32 v1, vcc_lo, s12, v1, vcc_lo
	s_addc_u32 s1, s29, s1
	v_add_co_u32 v5, vcc_lo, s0, v5
	v_add_co_ci_u32_e32 v6, vcc_lo, s1, v6, vcc_lo
	s_lshl_b32 s1, s2, 4
	s_mov_b32 s2, 0
	s_set_inst_prefetch_distance 0x1
	.p2align	6
.LBB5_2:                                ; =>This Inner Loop Header: Depth=1
	v_ashrrev_i32_e32 v11, 31, v2
	v_mul_lo_u32 v9, v2, s21
	v_mad_u64_u32 v[7:8], null, v2, s20, 0
	v_mul_lo_u32 v12, v2, s9
	s_delay_alu instid0(VALU_DEP_4) | instskip(SKIP_1) | instid1(VALU_DEP_2)
	v_mul_lo_u32 v10, v11, s20
	v_mul_lo_u32 v11, v11, s8
	v_add3_u32 v8, v8, v9, v10
	s_delay_alu instid0(VALU_DEP_1) | instskip(NEXT) | instid1(VALU_DEP_1)
	v_lshlrev_b64 v[7:8], 3, v[7:8]
	v_add_co_u32 v7, vcc_lo, v3, v7
	s_delay_alu instid0(VALU_DEP_2)
	v_add_co_ci_u32_e32 v8, vcc_lo, v4, v8, vcc_lo
	global_load_b64 v[9:10], v[0:1], off
	global_load_b64 v[7:8], v[7:8], off
	s_waitcnt vmcnt(0)
	v_mul_f64 v[7:8], v[7:8], v[9:10]
	v_mad_u64_u32 v[9:10], null, v2, s8, 0
	v_add_nc_u32_e32 v2, s1, v2
	s_delay_alu instid0(VALU_DEP_1) | instskip(NEXT) | instid1(VALU_DEP_3)
	v_cmp_le_i32_e32 vcc_lo, s3, v2
	v_add3_u32 v10, v10, v12, v11
	s_or_b32 s2, vcc_lo, s2
	s_delay_alu instid0(VALU_DEP_1) | instskip(NEXT) | instid1(VALU_DEP_1)
	v_lshlrev_b64 v[9:10], 3, v[9:10]
	v_add_co_u32 v9, s0, v5, v9
	s_delay_alu instid0(VALU_DEP_1)
	v_add_co_ci_u32_e64 v10, s0, v6, v10, s0
	global_store_b64 v[9:10], v[7:8], off
	s_and_not1_b32 exec_lo, exec_lo, s2
	s_cbranch_execnz .LBB5_2
.LBB5_3:
	s_set_inst_prefetch_distance 0x2
	s_nop 0
	s_sendmsg sendmsg(MSG_DEALLOC_VGPRS)
	s_endpgm
	.section	.rodata,"a",@progbits
	.p2align	6, 0x0
	.amdhsa_kernel _ZL19rocblas_dgmm_kernelILi16ELi16ELb0EPKdPdEviiT2_lllS3_lllT3_llli
		.amdhsa_group_segment_fixed_size 0
		.amdhsa_private_segment_fixed_size 0
		.amdhsa_kernarg_size 368
		.amdhsa_user_sgpr_count 13
		.amdhsa_user_sgpr_dispatch_ptr 0
		.amdhsa_user_sgpr_queue_ptr 0
		.amdhsa_user_sgpr_kernarg_segment_ptr 1
		.amdhsa_user_sgpr_dispatch_id 0
		.amdhsa_user_sgpr_private_segment_size 0
		.amdhsa_wavefront_size32 1
		.amdhsa_uses_dynamic_stack 0
		.amdhsa_enable_private_segment 0
		.amdhsa_system_sgpr_workgroup_id_x 1
		.amdhsa_system_sgpr_workgroup_id_y 1
		.amdhsa_system_sgpr_workgroup_id_z 1
		.amdhsa_system_sgpr_workgroup_info 0
		.amdhsa_system_vgpr_workitem_id 1
		.amdhsa_next_free_vgpr 13
		.amdhsa_next_free_sgpr 32
		.amdhsa_reserve_vcc 1
		.amdhsa_float_round_mode_32 0
		.amdhsa_float_round_mode_16_64 0
		.amdhsa_float_denorm_mode_32 3
		.amdhsa_float_denorm_mode_16_64 3
		.amdhsa_dx10_clamp 1
		.amdhsa_ieee_mode 1
		.amdhsa_fp16_overflow 0
		.amdhsa_workgroup_processor_mode 1
		.amdhsa_memory_ordered 1
		.amdhsa_forward_progress 0
		.amdhsa_shared_vgpr_count 0
		.amdhsa_exception_fp_ieee_invalid_op 0
		.amdhsa_exception_fp_denorm_src 0
		.amdhsa_exception_fp_ieee_div_zero 0
		.amdhsa_exception_fp_ieee_overflow 0
		.amdhsa_exception_fp_ieee_underflow 0
		.amdhsa_exception_fp_ieee_inexact 0
		.amdhsa_exception_int_div_zero 0
	.end_amdhsa_kernel
	.section	.text._ZL19rocblas_dgmm_kernelILi16ELi16ELb0EPKdPdEviiT2_lllS3_lllT3_llli,"axG",@progbits,_ZL19rocblas_dgmm_kernelILi16ELi16ELb0EPKdPdEviiT2_lllS3_lllT3_llli,comdat
.Lfunc_end5:
	.size	_ZL19rocblas_dgmm_kernelILi16ELi16ELb0EPKdPdEviiT2_lllS3_lllT3_llli, .Lfunc_end5-_ZL19rocblas_dgmm_kernelILi16ELi16ELb0EPKdPdEviiT2_lllS3_lllT3_llli
                                        ; -- End function
	.section	.AMDGPU.csdata,"",@progbits
; Kernel info:
; codeLenInByte = 544
; NumSgprs: 34
; NumVgprs: 13
; ScratchSize: 0
; MemoryBound: 0
; FloatMode: 240
; IeeeMode: 1
; LDSByteSize: 0 bytes/workgroup (compile time only)
; SGPRBlocks: 4
; VGPRBlocks: 1
; NumSGPRsForWavesPerEU: 34
; NumVGPRsForWavesPerEU: 13
; Occupancy: 16
; WaveLimiterHint : 0
; COMPUTE_PGM_RSRC2:SCRATCH_EN: 0
; COMPUTE_PGM_RSRC2:USER_SGPR: 13
; COMPUTE_PGM_RSRC2:TRAP_HANDLER: 0
; COMPUTE_PGM_RSRC2:TGID_X_EN: 1
; COMPUTE_PGM_RSRC2:TGID_Y_EN: 1
; COMPUTE_PGM_RSRC2:TGID_Z_EN: 1
; COMPUTE_PGM_RSRC2:TIDIG_COMP_CNT: 1
	.section	.text._ZL26rocblas_dgmm_gfx942_kernelILi32ELi32ELb1EPKdPdEviiT2_lllS3_lllT3_lll,"axG",@progbits,_ZL26rocblas_dgmm_gfx942_kernelILi32ELi32ELb1EPKdPdEviiT2_lllS3_lllT3_lll,comdat
	.globl	_ZL26rocblas_dgmm_gfx942_kernelILi32ELi32ELb1EPKdPdEviiT2_lllS3_lllT3_lll ; -- Begin function _ZL26rocblas_dgmm_gfx942_kernelILi32ELi32ELb1EPKdPdEviiT2_lllS3_lllT3_lll
	.p2align	8
	.type	_ZL26rocblas_dgmm_gfx942_kernelILi32ELi32ELb1EPKdPdEviiT2_lllS3_lllT3_lll,@function
_ZL26rocblas_dgmm_gfx942_kernelILi32ELi32ELb1EPKdPdEviiT2_lllS3_lllT3_lll: ; @_ZL26rocblas_dgmm_gfx942_kernelILi32ELi32ELb1EPKdPdEviiT2_lllS3_lllT3_lll
; %bb.0:
	s_endpgm
	.section	.rodata,"a",@progbits
	.p2align	6, 0x0
	.amdhsa_kernel _ZL26rocblas_dgmm_gfx942_kernelILi32ELi32ELb1EPKdPdEviiT2_lllS3_lllT3_lll
		.amdhsa_group_segment_fixed_size 0
		.amdhsa_private_segment_fixed_size 0
		.amdhsa_kernarg_size 104
		.amdhsa_user_sgpr_count 15
		.amdhsa_user_sgpr_dispatch_ptr 0
		.amdhsa_user_sgpr_queue_ptr 0
		.amdhsa_user_sgpr_kernarg_segment_ptr 1
		.amdhsa_user_sgpr_dispatch_id 0
		.amdhsa_user_sgpr_private_segment_size 0
		.amdhsa_wavefront_size32 1
		.amdhsa_uses_dynamic_stack 0
		.amdhsa_enable_private_segment 0
		.amdhsa_system_sgpr_workgroup_id_x 1
		.amdhsa_system_sgpr_workgroup_id_y 0
		.amdhsa_system_sgpr_workgroup_id_z 0
		.amdhsa_system_sgpr_workgroup_info 0
		.amdhsa_system_vgpr_workitem_id 0
		.amdhsa_next_free_vgpr 1
		.amdhsa_next_free_sgpr 1
		.amdhsa_reserve_vcc 0
		.amdhsa_float_round_mode_32 0
		.amdhsa_float_round_mode_16_64 0
		.amdhsa_float_denorm_mode_32 3
		.amdhsa_float_denorm_mode_16_64 3
		.amdhsa_dx10_clamp 1
		.amdhsa_ieee_mode 1
		.amdhsa_fp16_overflow 0
		.amdhsa_workgroup_processor_mode 1
		.amdhsa_memory_ordered 1
		.amdhsa_forward_progress 0
		.amdhsa_shared_vgpr_count 0
		.amdhsa_exception_fp_ieee_invalid_op 0
		.amdhsa_exception_fp_denorm_src 0
		.amdhsa_exception_fp_ieee_div_zero 0
		.amdhsa_exception_fp_ieee_overflow 0
		.amdhsa_exception_fp_ieee_underflow 0
		.amdhsa_exception_fp_ieee_inexact 0
		.amdhsa_exception_int_div_zero 0
	.end_amdhsa_kernel
	.section	.text._ZL26rocblas_dgmm_gfx942_kernelILi32ELi32ELb1EPKdPdEviiT2_lllS3_lllT3_lll,"axG",@progbits,_ZL26rocblas_dgmm_gfx942_kernelILi32ELi32ELb1EPKdPdEviiT2_lllS3_lllT3_lll,comdat
.Lfunc_end6:
	.size	_ZL26rocblas_dgmm_gfx942_kernelILi32ELi32ELb1EPKdPdEviiT2_lllS3_lllT3_lll, .Lfunc_end6-_ZL26rocblas_dgmm_gfx942_kernelILi32ELi32ELb1EPKdPdEviiT2_lllS3_lllT3_lll
                                        ; -- End function
	.section	.AMDGPU.csdata,"",@progbits
; Kernel info:
; codeLenInByte = 4
; NumSgprs: 0
; NumVgprs: 0
; ScratchSize: 0
; MemoryBound: 0
; FloatMode: 240
; IeeeMode: 1
; LDSByteSize: 0 bytes/workgroup (compile time only)
; SGPRBlocks: 0
; VGPRBlocks: 0
; NumSGPRsForWavesPerEU: 1
; NumVGPRsForWavesPerEU: 1
; Occupancy: 16
; WaveLimiterHint : 0
; COMPUTE_PGM_RSRC2:SCRATCH_EN: 0
; COMPUTE_PGM_RSRC2:USER_SGPR: 15
; COMPUTE_PGM_RSRC2:TRAP_HANDLER: 0
; COMPUTE_PGM_RSRC2:TGID_X_EN: 1
; COMPUTE_PGM_RSRC2:TGID_Y_EN: 0
; COMPUTE_PGM_RSRC2:TGID_Z_EN: 0
; COMPUTE_PGM_RSRC2:TIDIG_COMP_CNT: 0
	.section	.text._ZL19rocblas_dgmm_kernelILi16ELi16ELb1EPKdPdEviiT2_lllS3_lllT3_llli,"axG",@progbits,_ZL19rocblas_dgmm_kernelILi16ELi16ELb1EPKdPdEviiT2_lllS3_lllT3_llli,comdat
	.globl	_ZL19rocblas_dgmm_kernelILi16ELi16ELb1EPKdPdEviiT2_lllS3_lllT3_llli ; -- Begin function _ZL19rocblas_dgmm_kernelILi16ELi16ELb1EPKdPdEviiT2_lllS3_lllT3_llli
	.p2align	8
	.type	_ZL19rocblas_dgmm_kernelILi16ELi16ELb1EPKdPdEviiT2_lllS3_lllT3_llli,@function
_ZL19rocblas_dgmm_kernelILi16ELi16ELb1EPKdPdEviiT2_lllS3_lllT3_llli: ; @_ZL19rocblas_dgmm_kernelILi16ELi16ELb1EPKdPdEviiT2_lllS3_lllT3_llli
; %bb.0:
	s_load_b64 s[2:3], s[0:1], 0x0
	v_and_b32_e32 v1, 0x3ff, v0
	v_bfe_u32 v2, v0, 10, 10
	s_delay_alu instid0(VALU_DEP_2) | instskip(NEXT) | instid1(VALU_DEP_2)
	v_lshl_add_u32 v0, s13, 4, v1
	v_lshl_add_u32 v2, s14, 4, v2
	s_waitcnt lgkmcnt(0)
	s_delay_alu instid0(VALU_DEP_2) | instskip(NEXT) | instid1(VALU_DEP_2)
	v_cmp_gt_i32_e32 vcc_lo, s2, v0
	v_cmp_gt_i32_e64 s2, s3, v2
	s_delay_alu instid0(VALU_DEP_1) | instskip(NEXT) | instid1(SALU_CYCLE_1)
	s_and_b32 s2, vcc_lo, s2
	s_and_saveexec_b32 s4, s2
	s_cbranch_execz .LBB7_3
; %bb.1:
	s_clause 0x2
	s_load_b256 s[4:11], s[0:1], 0x48
	s_load_b512 s[16:31], s[0:1], 0x8
	s_load_b32 s12, s[0:1], 0x74
	v_ashrrev_i32_e32 v1, 31, v0
	s_delay_alu instid0(VALU_DEP_1)
	v_lshlrev_b64 v[3:4], 3, v[0:1]
	s_waitcnt lgkmcnt(0)
	s_lshl_b64 s[0:1], s[6:7], 3
	s_mul_i32 s2, s15, s23
	s_add_u32 s13, s4, s0
	s_addc_u32 s14, s5, s1
	s_lshl_b64 s[0:1], s[26:27], 3
	s_mul_hi_u32 s7, s15, s22
	s_add_u32 s23, s24, s0
	s_addc_u32 s24, s25, s1
	s_lshl_b64 s[0:1], s[18:19], 3
	s_mul_i32 s6, s15, s22
	s_add_u32 s16, s16, s0
	s_addc_u32 s1, s17, s1
	s_add_i32 s7, s7, s2
	s_mul_i32 s22, s15, s31
	s_lshl_b64 s[4:5], s[6:7], 3
	s_mul_hi_u32 s18, s15, s30
	s_mul_i32 s7, s15, s11
	s_add_u32 s11, s16, s4
	s_mul_i32 s0, s15, s30
	s_addc_u32 s16, s1, s5
	s_add_i32 s1, s18, s22
	s_mul_hi_u32 s17, s15, s10
	s_lshl_b64 s[4:5], s[0:1], 3
	s_mul_i32 s6, s15, s10
	s_add_u32 s1, s23, s4
	s_addc_u32 s2, s24, s5
	s_add_i32 s7, s17, s7
	v_add_co_u32 v0, vcc_lo, s11, v3
	s_lshl_b64 s[4:5], s[6:7], 3
	v_add_co_ci_u32_e32 v1, vcc_lo, s16, v4, vcc_lo
	s_add_u32 s0, s13, s4
	s_addc_u32 s4, s14, s5
	v_add_co_u32 v3, vcc_lo, s0, v3
	v_add_co_ci_u32_e32 v4, vcc_lo, s4, v4, vcc_lo
	s_lshl_b32 s4, s12, 4
	s_mov_b32 s5, 0
.LBB7_2:                                ; =>This Inner Loop Header: Depth=1
	v_ashrrev_i32_e32 v9, 31, v2
	v_mul_lo_u32 v10, v2, s21
	v_mad_u64_u32 v[5:6], null, v2, s20, 0
	v_mul_lo_u32 v11, v2, s29
	s_delay_alu instid0(VALU_DEP_4) | instskip(SKIP_3) | instid1(VALU_DEP_4)
	v_mul_lo_u32 v12, v9, s20
	v_mad_u64_u32 v[7:8], null, v2, s28, 0
	v_mul_lo_u32 v13, v9, s28
	v_mul_lo_u32 v9, v9, s8
	v_add3_u32 v6, v6, v10, v12
	v_mul_lo_u32 v10, v2, s9
	s_delay_alu instid0(VALU_DEP_4) | instskip(NEXT) | instid1(VALU_DEP_3)
	v_add3_u32 v8, v8, v11, v13
	v_lshlrev_b64 v[5:6], 3, v[5:6]
	s_delay_alu instid0(VALU_DEP_2) | instskip(NEXT) | instid1(VALU_DEP_2)
	v_lshlrev_b64 v[7:8], 3, v[7:8]
	v_add_co_u32 v5, vcc_lo, v0, v5
	s_delay_alu instid0(VALU_DEP_3) | instskip(NEXT) | instid1(VALU_DEP_3)
	v_add_co_ci_u32_e32 v6, vcc_lo, v1, v6, vcc_lo
	v_add_co_u32 v7, vcc_lo, s1, v7
	s_delay_alu instid0(VALU_DEP_4)
	v_add_co_ci_u32_e32 v8, vcc_lo, s2, v8, vcc_lo
	global_load_b64 v[5:6], v[5:6], off
	global_load_b64 v[7:8], v[7:8], off
	s_waitcnt vmcnt(0)
	v_mul_f64 v[5:6], v[5:6], v[7:8]
	v_mad_u64_u32 v[7:8], null, v2, s8, 0
	v_add_nc_u32_e32 v2, s4, v2
	s_delay_alu instid0(VALU_DEP_1) | instskip(NEXT) | instid1(VALU_DEP_3)
	v_cmp_le_i32_e32 vcc_lo, s3, v2
	v_add3_u32 v8, v8, v10, v9
	s_or_b32 s5, vcc_lo, s5
	s_delay_alu instid0(VALU_DEP_1) | instskip(NEXT) | instid1(VALU_DEP_1)
	v_lshlrev_b64 v[7:8], 3, v[7:8]
	v_add_co_u32 v7, s0, v3, v7
	s_delay_alu instid0(VALU_DEP_1)
	v_add_co_ci_u32_e64 v8, s0, v4, v8, s0
	global_store_b64 v[7:8], v[5:6], off
	s_and_not1_b32 exec_lo, exec_lo, s5
	s_cbranch_execnz .LBB7_2
.LBB7_3:
	s_nop 0
	s_sendmsg sendmsg(MSG_DEALLOC_VGPRS)
	s_endpgm
	.section	.rodata,"a",@progbits
	.p2align	6, 0x0
	.amdhsa_kernel _ZL19rocblas_dgmm_kernelILi16ELi16ELb1EPKdPdEviiT2_lllS3_lllT3_llli
		.amdhsa_group_segment_fixed_size 0
		.amdhsa_private_segment_fixed_size 0
		.amdhsa_kernarg_size 368
		.amdhsa_user_sgpr_count 13
		.amdhsa_user_sgpr_dispatch_ptr 0
		.amdhsa_user_sgpr_queue_ptr 0
		.amdhsa_user_sgpr_kernarg_segment_ptr 1
		.amdhsa_user_sgpr_dispatch_id 0
		.amdhsa_user_sgpr_private_segment_size 0
		.amdhsa_wavefront_size32 1
		.amdhsa_uses_dynamic_stack 0
		.amdhsa_enable_private_segment 0
		.amdhsa_system_sgpr_workgroup_id_x 1
		.amdhsa_system_sgpr_workgroup_id_y 1
		.amdhsa_system_sgpr_workgroup_id_z 1
		.amdhsa_system_sgpr_workgroup_info 0
		.amdhsa_system_vgpr_workitem_id 1
		.amdhsa_next_free_vgpr 14
		.amdhsa_next_free_sgpr 32
		.amdhsa_reserve_vcc 1
		.amdhsa_float_round_mode_32 0
		.amdhsa_float_round_mode_16_64 0
		.amdhsa_float_denorm_mode_32 3
		.amdhsa_float_denorm_mode_16_64 3
		.amdhsa_dx10_clamp 1
		.amdhsa_ieee_mode 1
		.amdhsa_fp16_overflow 0
		.amdhsa_workgroup_processor_mode 1
		.amdhsa_memory_ordered 1
		.amdhsa_forward_progress 0
		.amdhsa_shared_vgpr_count 0
		.amdhsa_exception_fp_ieee_invalid_op 0
		.amdhsa_exception_fp_denorm_src 0
		.amdhsa_exception_fp_ieee_div_zero 0
		.amdhsa_exception_fp_ieee_overflow 0
		.amdhsa_exception_fp_ieee_underflow 0
		.amdhsa_exception_fp_ieee_inexact 0
		.amdhsa_exception_int_div_zero 0
	.end_amdhsa_kernel
	.section	.text._ZL19rocblas_dgmm_kernelILi16ELi16ELb1EPKdPdEviiT2_lllS3_lllT3_llli,"axG",@progbits,_ZL19rocblas_dgmm_kernelILi16ELi16ELb1EPKdPdEviiT2_lllS3_lllT3_llli,comdat
.Lfunc_end7:
	.size	_ZL19rocblas_dgmm_kernelILi16ELi16ELb1EPKdPdEviiT2_lllS3_lllT3_llli, .Lfunc_end7-_ZL19rocblas_dgmm_kernelILi16ELi16ELb1EPKdPdEviiT2_lllS3_lllT3_llli
                                        ; -- End function
	.section	.AMDGPU.csdata,"",@progbits
; Kernel info:
; codeLenInByte = 544
; NumSgprs: 34
; NumVgprs: 14
; ScratchSize: 0
; MemoryBound: 0
; FloatMode: 240
; IeeeMode: 1
; LDSByteSize: 0 bytes/workgroup (compile time only)
; SGPRBlocks: 4
; VGPRBlocks: 1
; NumSGPRsForWavesPerEU: 34
; NumVGPRsForWavesPerEU: 14
; Occupancy: 16
; WaveLimiterHint : 0
; COMPUTE_PGM_RSRC2:SCRATCH_EN: 0
; COMPUTE_PGM_RSRC2:USER_SGPR: 13
; COMPUTE_PGM_RSRC2:TRAP_HANDLER: 0
; COMPUTE_PGM_RSRC2:TGID_X_EN: 1
; COMPUTE_PGM_RSRC2:TGID_Y_EN: 1
; COMPUTE_PGM_RSRC2:TGID_Z_EN: 1
; COMPUTE_PGM_RSRC2:TIDIG_COMP_CNT: 1
	.section	.text._ZL26rocblas_dgmm_gfx942_kernelILi32ELi32ELb0EPK19rocblas_complex_numIfEPS1_EviiT2_lllS5_lllT3_lll,"axG",@progbits,_ZL26rocblas_dgmm_gfx942_kernelILi32ELi32ELb0EPK19rocblas_complex_numIfEPS1_EviiT2_lllS5_lllT3_lll,comdat
	.globl	_ZL26rocblas_dgmm_gfx942_kernelILi32ELi32ELb0EPK19rocblas_complex_numIfEPS1_EviiT2_lllS5_lllT3_lll ; -- Begin function _ZL26rocblas_dgmm_gfx942_kernelILi32ELi32ELb0EPK19rocblas_complex_numIfEPS1_EviiT2_lllS5_lllT3_lll
	.p2align	8
	.type	_ZL26rocblas_dgmm_gfx942_kernelILi32ELi32ELb0EPK19rocblas_complex_numIfEPS1_EviiT2_lllS5_lllT3_lll,@function
_ZL26rocblas_dgmm_gfx942_kernelILi32ELi32ELb0EPK19rocblas_complex_numIfEPS1_EviiT2_lllS5_lllT3_lll: ; @_ZL26rocblas_dgmm_gfx942_kernelILi32ELi32ELb0EPK19rocblas_complex_numIfEPS1_EviiT2_lllS5_lllT3_lll
; %bb.0:
	s_endpgm
	.section	.rodata,"a",@progbits
	.p2align	6, 0x0
	.amdhsa_kernel _ZL26rocblas_dgmm_gfx942_kernelILi32ELi32ELb0EPK19rocblas_complex_numIfEPS1_EviiT2_lllS5_lllT3_lll
		.amdhsa_group_segment_fixed_size 0
		.amdhsa_private_segment_fixed_size 0
		.amdhsa_kernarg_size 104
		.amdhsa_user_sgpr_count 15
		.amdhsa_user_sgpr_dispatch_ptr 0
		.amdhsa_user_sgpr_queue_ptr 0
		.amdhsa_user_sgpr_kernarg_segment_ptr 1
		.amdhsa_user_sgpr_dispatch_id 0
		.amdhsa_user_sgpr_private_segment_size 0
		.amdhsa_wavefront_size32 1
		.amdhsa_uses_dynamic_stack 0
		.amdhsa_enable_private_segment 0
		.amdhsa_system_sgpr_workgroup_id_x 1
		.amdhsa_system_sgpr_workgroup_id_y 0
		.amdhsa_system_sgpr_workgroup_id_z 0
		.amdhsa_system_sgpr_workgroup_info 0
		.amdhsa_system_vgpr_workitem_id 0
		.amdhsa_next_free_vgpr 1
		.amdhsa_next_free_sgpr 1
		.amdhsa_reserve_vcc 0
		.amdhsa_float_round_mode_32 0
		.amdhsa_float_round_mode_16_64 0
		.amdhsa_float_denorm_mode_32 3
		.amdhsa_float_denorm_mode_16_64 3
		.amdhsa_dx10_clamp 1
		.amdhsa_ieee_mode 1
		.amdhsa_fp16_overflow 0
		.amdhsa_workgroup_processor_mode 1
		.amdhsa_memory_ordered 1
		.amdhsa_forward_progress 0
		.amdhsa_shared_vgpr_count 0
		.amdhsa_exception_fp_ieee_invalid_op 0
		.amdhsa_exception_fp_denorm_src 0
		.amdhsa_exception_fp_ieee_div_zero 0
		.amdhsa_exception_fp_ieee_overflow 0
		.amdhsa_exception_fp_ieee_underflow 0
		.amdhsa_exception_fp_ieee_inexact 0
		.amdhsa_exception_int_div_zero 0
	.end_amdhsa_kernel
	.section	.text._ZL26rocblas_dgmm_gfx942_kernelILi32ELi32ELb0EPK19rocblas_complex_numIfEPS1_EviiT2_lllS5_lllT3_lll,"axG",@progbits,_ZL26rocblas_dgmm_gfx942_kernelILi32ELi32ELb0EPK19rocblas_complex_numIfEPS1_EviiT2_lllS5_lllT3_lll,comdat
.Lfunc_end8:
	.size	_ZL26rocblas_dgmm_gfx942_kernelILi32ELi32ELb0EPK19rocblas_complex_numIfEPS1_EviiT2_lllS5_lllT3_lll, .Lfunc_end8-_ZL26rocblas_dgmm_gfx942_kernelILi32ELi32ELb0EPK19rocblas_complex_numIfEPS1_EviiT2_lllS5_lllT3_lll
                                        ; -- End function
	.section	.AMDGPU.csdata,"",@progbits
; Kernel info:
; codeLenInByte = 4
; NumSgprs: 0
; NumVgprs: 0
; ScratchSize: 0
; MemoryBound: 0
; FloatMode: 240
; IeeeMode: 1
; LDSByteSize: 0 bytes/workgroup (compile time only)
; SGPRBlocks: 0
; VGPRBlocks: 0
; NumSGPRsForWavesPerEU: 1
; NumVGPRsForWavesPerEU: 1
; Occupancy: 16
; WaveLimiterHint : 0
; COMPUTE_PGM_RSRC2:SCRATCH_EN: 0
; COMPUTE_PGM_RSRC2:USER_SGPR: 15
; COMPUTE_PGM_RSRC2:TRAP_HANDLER: 0
; COMPUTE_PGM_RSRC2:TGID_X_EN: 1
; COMPUTE_PGM_RSRC2:TGID_Y_EN: 0
; COMPUTE_PGM_RSRC2:TGID_Z_EN: 0
; COMPUTE_PGM_RSRC2:TIDIG_COMP_CNT: 0
	.section	.text._ZL19rocblas_dgmm_kernelILi16ELi16ELb0EPK19rocblas_complex_numIfEPS1_EviiT2_lllS5_lllT3_llli,"axG",@progbits,_ZL19rocblas_dgmm_kernelILi16ELi16ELb0EPK19rocblas_complex_numIfEPS1_EviiT2_lllS5_lllT3_llli,comdat
	.globl	_ZL19rocblas_dgmm_kernelILi16ELi16ELb0EPK19rocblas_complex_numIfEPS1_EviiT2_lllS5_lllT3_llli ; -- Begin function _ZL19rocblas_dgmm_kernelILi16ELi16ELb0EPK19rocblas_complex_numIfEPS1_EviiT2_lllS5_lllT3_llli
	.p2align	8
	.type	_ZL19rocblas_dgmm_kernelILi16ELi16ELb0EPK19rocblas_complex_numIfEPS1_EviiT2_lllS5_lllT3_llli,@function
_ZL19rocblas_dgmm_kernelILi16ELi16ELb0EPK19rocblas_complex_numIfEPS1_EviiT2_lllS5_lllT3_llli: ; @_ZL19rocblas_dgmm_kernelILi16ELi16ELb0EPK19rocblas_complex_numIfEPS1_EviiT2_lllS5_lllT3_llli
; %bb.0:
	s_load_b64 s[2:3], s[0:1], 0x0
	v_and_b32_e32 v1, 0x3ff, v0
	v_bfe_u32 v2, v0, 10, 10
	s_delay_alu instid0(VALU_DEP_2) | instskip(NEXT) | instid1(VALU_DEP_2)
	v_lshl_add_u32 v0, s13, 4, v1
	v_lshl_add_u32 v2, s14, 4, v2
	s_waitcnt lgkmcnt(0)
	s_delay_alu instid0(VALU_DEP_2) | instskip(NEXT) | instid1(VALU_DEP_2)
	v_cmp_gt_i32_e32 vcc_lo, s2, v0
	v_cmp_gt_i32_e64 s2, s3, v2
	s_delay_alu instid0(VALU_DEP_1) | instskip(NEXT) | instid1(SALU_CYCLE_1)
	s_and_b32 s2, vcc_lo, s2
	s_and_saveexec_b32 s4, s2
	s_cbranch_execz .LBB9_3
; %bb.1:
	s_clause 0x1
	s_load_b256 s[4:11], s[0:1], 0x48
	s_load_b512 s[16:31], s[0:1], 0x8
	v_ashrrev_i32_e32 v1, 31, v0
	s_load_b32 s2, s[0:1], 0x74
	s_delay_alu instid0(VALU_DEP_1)
	v_lshlrev_b64 v[5:6], 3, v[0:1]
	s_waitcnt lgkmcnt(0)
	s_lshl_b64 s[0:1], s[6:7], 3
	s_mul_i32 s7, s15, s23
	s_add_u32 s23, s4, s0
	v_mul_lo_u32 v7, v0, s29
	s_addc_u32 s29, s5, s1
	s_lshl_b64 s[0:1], s[26:27], 3
	v_mul_lo_u32 v1, v1, s28
	v_mad_u64_u32 v[3:4], null, v0, s28, 0
	s_add_u32 s5, s24, s0
	s_addc_u32 s24, s25, s1
	s_lshl_b64 s[0:1], s[18:19], 3
	s_mul_hi_u32 s13, s15, s22
	s_add_u32 s4, s16, s0
	s_mul_i32 s6, s15, s22
	s_addc_u32 s16, s17, s1
	s_add_i32 s7, s13, s7
	v_add3_u32 v4, v4, v7, v1
	s_lshl_b64 s[0:1], s[6:7], 3
	s_mul_i32 s14, s15, s31
	s_mul_hi_u32 s22, s15, s30
	s_add_u32 s7, s4, s0
	s_mul_i32 s12, s15, s30
	s_addc_u32 s16, s16, s1
	s_add_i32 s13, s22, s14
	v_lshlrev_b64 v[0:1], 3, v[3:4]
	s_lshl_b64 s[0:1], s[12:13], 3
	s_mul_i32 s11, s15, s11
	s_mul_hi_u32 s6, s15, s10
	s_mul_i32 s4, s15, s10
	s_add_u32 s10, s5, s0
	s_addc_u32 s12, s24, s1
	s_add_i32 s5, s6, s11
	v_add_co_u32 v3, vcc_lo, s7, v5
	s_lshl_b64 s[0:1], s[4:5], 3
	v_add_co_ci_u32_e32 v4, vcc_lo, s16, v6, vcc_lo
	v_add_co_u32 v0, vcc_lo, s10, v0
	s_add_u32 s0, s23, s0
	v_add_co_ci_u32_e32 v1, vcc_lo, s12, v1, vcc_lo
	s_addc_u32 s1, s29, s1
	v_add_co_u32 v5, vcc_lo, s0, v5
	v_add_co_ci_u32_e32 v6, vcc_lo, s1, v6, vcc_lo
	s_lshl_b32 s1, s2, 4
	s_mov_b32 s2, 0
	s_set_inst_prefetch_distance 0x1
	.p2align	6
.LBB9_2:                                ; =>This Inner Loop Header: Depth=1
	v_ashrrev_i32_e32 v13, 31, v2
	v_mul_lo_u32 v9, v2, s21
	v_mad_u64_u32 v[7:8], null, v2, s20, 0
	v_mul_lo_u32 v14, v2, s9
	s_delay_alu instid0(VALU_DEP_4) | instskip(SKIP_2) | instid1(VALU_DEP_3)
	v_mul_lo_u32 v10, v13, s20
	v_mad_u64_u32 v[11:12], null, v2, s8, 0
	v_mul_lo_u32 v13, v13, s8
	v_add3_u32 v8, v8, v9, v10
	s_delay_alu instid0(VALU_DEP_2) | instskip(NEXT) | instid1(VALU_DEP_2)
	v_add3_u32 v12, v12, v14, v13
	v_lshlrev_b64 v[7:8], 3, v[7:8]
	s_delay_alu instid0(VALU_DEP_2) | instskip(NEXT) | instid1(VALU_DEP_2)
	v_lshlrev_b64 v[11:12], 3, v[11:12]
	v_add_co_u32 v7, vcc_lo, v3, v7
	s_delay_alu instid0(VALU_DEP_3) | instskip(NEXT) | instid1(VALU_DEP_3)
	v_add_co_ci_u32_e32 v8, vcc_lo, v4, v8, vcc_lo
	v_add_co_u32 v14, s0, v5, v11
	global_load_b64 v[9:10], v[0:1], off
	global_load_b64 v[7:8], v[7:8], off
	v_add_nc_u32_e32 v2, s1, v2
	v_add_co_ci_u32_e64 v15, s0, v6, v12, s0
	s_waitcnt vmcnt(0)
	v_mul_f32_e32 v13, v9, v8
	v_mul_f32_e32 v16, v10, v8
	v_cmp_le_i32_e32 vcc_lo, s3, v2
	s_delay_alu instid0(VALU_DEP_3) | instskip(NEXT) | instid1(VALU_DEP_3)
	v_fmac_f32_e32 v13, v10, v7
	v_fma_f32 v12, v9, v7, -v16
	s_or_b32 s2, vcc_lo, s2
	global_store_b64 v[14:15], v[12:13], off
	s_and_not1_b32 exec_lo, exec_lo, s2
	s_cbranch_execnz .LBB9_2
.LBB9_3:
	s_set_inst_prefetch_distance 0x2
	s_nop 0
	s_sendmsg sendmsg(MSG_DEALLOC_VGPRS)
	s_endpgm
	.section	.rodata,"a",@progbits
	.p2align	6, 0x0
	.amdhsa_kernel _ZL19rocblas_dgmm_kernelILi16ELi16ELb0EPK19rocblas_complex_numIfEPS1_EviiT2_lllS5_lllT3_llli
		.amdhsa_group_segment_fixed_size 0
		.amdhsa_private_segment_fixed_size 0
		.amdhsa_kernarg_size 368
		.amdhsa_user_sgpr_count 13
		.amdhsa_user_sgpr_dispatch_ptr 0
		.amdhsa_user_sgpr_queue_ptr 0
		.amdhsa_user_sgpr_kernarg_segment_ptr 1
		.amdhsa_user_sgpr_dispatch_id 0
		.amdhsa_user_sgpr_private_segment_size 0
		.amdhsa_wavefront_size32 1
		.amdhsa_uses_dynamic_stack 0
		.amdhsa_enable_private_segment 0
		.amdhsa_system_sgpr_workgroup_id_x 1
		.amdhsa_system_sgpr_workgroup_id_y 1
		.amdhsa_system_sgpr_workgroup_id_z 1
		.amdhsa_system_sgpr_workgroup_info 0
		.amdhsa_system_vgpr_workitem_id 1
		.amdhsa_next_free_vgpr 17
		.amdhsa_next_free_sgpr 32
		.amdhsa_reserve_vcc 1
		.amdhsa_float_round_mode_32 0
		.amdhsa_float_round_mode_16_64 0
		.amdhsa_float_denorm_mode_32 3
		.amdhsa_float_denorm_mode_16_64 3
		.amdhsa_dx10_clamp 1
		.amdhsa_ieee_mode 1
		.amdhsa_fp16_overflow 0
		.amdhsa_workgroup_processor_mode 1
		.amdhsa_memory_ordered 1
		.amdhsa_forward_progress 0
		.amdhsa_shared_vgpr_count 0
		.amdhsa_exception_fp_ieee_invalid_op 0
		.amdhsa_exception_fp_denorm_src 0
		.amdhsa_exception_fp_ieee_div_zero 0
		.amdhsa_exception_fp_ieee_overflow 0
		.amdhsa_exception_fp_ieee_underflow 0
		.amdhsa_exception_fp_ieee_inexact 0
		.amdhsa_exception_int_div_zero 0
	.end_amdhsa_kernel
	.section	.text._ZL19rocblas_dgmm_kernelILi16ELi16ELb0EPK19rocblas_complex_numIfEPS1_EviiT2_lllS5_lllT3_llli,"axG",@progbits,_ZL19rocblas_dgmm_kernelILi16ELi16ELb0EPK19rocblas_complex_numIfEPS1_EviiT2_lllS5_lllT3_llli,comdat
.Lfunc_end9:
	.size	_ZL19rocblas_dgmm_kernelILi16ELi16ELb0EPK19rocblas_complex_numIfEPS1_EviiT2_lllS5_lllT3_llli, .Lfunc_end9-_ZL19rocblas_dgmm_kernelILi16ELi16ELb0EPK19rocblas_complex_numIfEPS1_EviiT2_lllS5_lllT3_llli
                                        ; -- End function
	.section	.AMDGPU.csdata,"",@progbits
; Kernel info:
; codeLenInByte = 552
; NumSgprs: 34
; NumVgprs: 17
; ScratchSize: 0
; MemoryBound: 0
; FloatMode: 240
; IeeeMode: 1
; LDSByteSize: 0 bytes/workgroup (compile time only)
; SGPRBlocks: 4
; VGPRBlocks: 2
; NumSGPRsForWavesPerEU: 34
; NumVGPRsForWavesPerEU: 17
; Occupancy: 16
; WaveLimiterHint : 0
; COMPUTE_PGM_RSRC2:SCRATCH_EN: 0
; COMPUTE_PGM_RSRC2:USER_SGPR: 13
; COMPUTE_PGM_RSRC2:TRAP_HANDLER: 0
; COMPUTE_PGM_RSRC2:TGID_X_EN: 1
; COMPUTE_PGM_RSRC2:TGID_Y_EN: 1
; COMPUTE_PGM_RSRC2:TGID_Z_EN: 1
; COMPUTE_PGM_RSRC2:TIDIG_COMP_CNT: 1
	.section	.text._ZL26rocblas_dgmm_gfx942_kernelILi32ELi32ELb1EPK19rocblas_complex_numIfEPS1_EviiT2_lllS5_lllT3_lll,"axG",@progbits,_ZL26rocblas_dgmm_gfx942_kernelILi32ELi32ELb1EPK19rocblas_complex_numIfEPS1_EviiT2_lllS5_lllT3_lll,comdat
	.globl	_ZL26rocblas_dgmm_gfx942_kernelILi32ELi32ELb1EPK19rocblas_complex_numIfEPS1_EviiT2_lllS5_lllT3_lll ; -- Begin function _ZL26rocblas_dgmm_gfx942_kernelILi32ELi32ELb1EPK19rocblas_complex_numIfEPS1_EviiT2_lllS5_lllT3_lll
	.p2align	8
	.type	_ZL26rocblas_dgmm_gfx942_kernelILi32ELi32ELb1EPK19rocblas_complex_numIfEPS1_EviiT2_lllS5_lllT3_lll,@function
_ZL26rocblas_dgmm_gfx942_kernelILi32ELi32ELb1EPK19rocblas_complex_numIfEPS1_EviiT2_lllS5_lllT3_lll: ; @_ZL26rocblas_dgmm_gfx942_kernelILi32ELi32ELb1EPK19rocblas_complex_numIfEPS1_EviiT2_lllS5_lllT3_lll
; %bb.0:
	s_endpgm
	.section	.rodata,"a",@progbits
	.p2align	6, 0x0
	.amdhsa_kernel _ZL26rocblas_dgmm_gfx942_kernelILi32ELi32ELb1EPK19rocblas_complex_numIfEPS1_EviiT2_lllS5_lllT3_lll
		.amdhsa_group_segment_fixed_size 0
		.amdhsa_private_segment_fixed_size 0
		.amdhsa_kernarg_size 104
		.amdhsa_user_sgpr_count 15
		.amdhsa_user_sgpr_dispatch_ptr 0
		.amdhsa_user_sgpr_queue_ptr 0
		.amdhsa_user_sgpr_kernarg_segment_ptr 1
		.amdhsa_user_sgpr_dispatch_id 0
		.amdhsa_user_sgpr_private_segment_size 0
		.amdhsa_wavefront_size32 1
		.amdhsa_uses_dynamic_stack 0
		.amdhsa_enable_private_segment 0
		.amdhsa_system_sgpr_workgroup_id_x 1
		.amdhsa_system_sgpr_workgroup_id_y 0
		.amdhsa_system_sgpr_workgroup_id_z 0
		.amdhsa_system_sgpr_workgroup_info 0
		.amdhsa_system_vgpr_workitem_id 0
		.amdhsa_next_free_vgpr 1
		.amdhsa_next_free_sgpr 1
		.amdhsa_reserve_vcc 0
		.amdhsa_float_round_mode_32 0
		.amdhsa_float_round_mode_16_64 0
		.amdhsa_float_denorm_mode_32 3
		.amdhsa_float_denorm_mode_16_64 3
		.amdhsa_dx10_clamp 1
		.amdhsa_ieee_mode 1
		.amdhsa_fp16_overflow 0
		.amdhsa_workgroup_processor_mode 1
		.amdhsa_memory_ordered 1
		.amdhsa_forward_progress 0
		.amdhsa_shared_vgpr_count 0
		.amdhsa_exception_fp_ieee_invalid_op 0
		.amdhsa_exception_fp_denorm_src 0
		.amdhsa_exception_fp_ieee_div_zero 0
		.amdhsa_exception_fp_ieee_overflow 0
		.amdhsa_exception_fp_ieee_underflow 0
		.amdhsa_exception_fp_ieee_inexact 0
		.amdhsa_exception_int_div_zero 0
	.end_amdhsa_kernel
	.section	.text._ZL26rocblas_dgmm_gfx942_kernelILi32ELi32ELb1EPK19rocblas_complex_numIfEPS1_EviiT2_lllS5_lllT3_lll,"axG",@progbits,_ZL26rocblas_dgmm_gfx942_kernelILi32ELi32ELb1EPK19rocblas_complex_numIfEPS1_EviiT2_lllS5_lllT3_lll,comdat
.Lfunc_end10:
	.size	_ZL26rocblas_dgmm_gfx942_kernelILi32ELi32ELb1EPK19rocblas_complex_numIfEPS1_EviiT2_lllS5_lllT3_lll, .Lfunc_end10-_ZL26rocblas_dgmm_gfx942_kernelILi32ELi32ELb1EPK19rocblas_complex_numIfEPS1_EviiT2_lllS5_lllT3_lll
                                        ; -- End function
	.section	.AMDGPU.csdata,"",@progbits
; Kernel info:
; codeLenInByte = 4
; NumSgprs: 0
; NumVgprs: 0
; ScratchSize: 0
; MemoryBound: 0
; FloatMode: 240
; IeeeMode: 1
; LDSByteSize: 0 bytes/workgroup (compile time only)
; SGPRBlocks: 0
; VGPRBlocks: 0
; NumSGPRsForWavesPerEU: 1
; NumVGPRsForWavesPerEU: 1
; Occupancy: 16
; WaveLimiterHint : 0
; COMPUTE_PGM_RSRC2:SCRATCH_EN: 0
; COMPUTE_PGM_RSRC2:USER_SGPR: 15
; COMPUTE_PGM_RSRC2:TRAP_HANDLER: 0
; COMPUTE_PGM_RSRC2:TGID_X_EN: 1
; COMPUTE_PGM_RSRC2:TGID_Y_EN: 0
; COMPUTE_PGM_RSRC2:TGID_Z_EN: 0
; COMPUTE_PGM_RSRC2:TIDIG_COMP_CNT: 0
	.section	.text._ZL19rocblas_dgmm_kernelILi16ELi16ELb1EPK19rocblas_complex_numIfEPS1_EviiT2_lllS5_lllT3_llli,"axG",@progbits,_ZL19rocblas_dgmm_kernelILi16ELi16ELb1EPK19rocblas_complex_numIfEPS1_EviiT2_lllS5_lllT3_llli,comdat
	.globl	_ZL19rocblas_dgmm_kernelILi16ELi16ELb1EPK19rocblas_complex_numIfEPS1_EviiT2_lllS5_lllT3_llli ; -- Begin function _ZL19rocblas_dgmm_kernelILi16ELi16ELb1EPK19rocblas_complex_numIfEPS1_EviiT2_lllS5_lllT3_llli
	.p2align	8
	.type	_ZL19rocblas_dgmm_kernelILi16ELi16ELb1EPK19rocblas_complex_numIfEPS1_EviiT2_lllS5_lllT3_llli,@function
_ZL19rocblas_dgmm_kernelILi16ELi16ELb1EPK19rocblas_complex_numIfEPS1_EviiT2_lllS5_lllT3_llli: ; @_ZL19rocblas_dgmm_kernelILi16ELi16ELb1EPK19rocblas_complex_numIfEPS1_EviiT2_lllS5_lllT3_llli
; %bb.0:
	s_load_b64 s[2:3], s[0:1], 0x0
	v_and_b32_e32 v1, 0x3ff, v0
	v_bfe_u32 v2, v0, 10, 10
	s_delay_alu instid0(VALU_DEP_2) | instskip(NEXT) | instid1(VALU_DEP_2)
	v_lshl_add_u32 v0, s13, 4, v1
	v_lshl_add_u32 v2, s14, 4, v2
	s_waitcnt lgkmcnt(0)
	s_delay_alu instid0(VALU_DEP_2) | instskip(NEXT) | instid1(VALU_DEP_2)
	v_cmp_gt_i32_e32 vcc_lo, s2, v0
	v_cmp_gt_i32_e64 s2, s3, v2
	s_delay_alu instid0(VALU_DEP_1) | instskip(NEXT) | instid1(SALU_CYCLE_1)
	s_and_b32 s2, vcc_lo, s2
	s_and_saveexec_b32 s4, s2
	s_cbranch_execz .LBB11_3
; %bb.1:
	s_clause 0x2
	s_load_b256 s[4:11], s[0:1], 0x48
	s_load_b512 s[16:31], s[0:1], 0x8
	s_load_b32 s12, s[0:1], 0x74
	v_ashrrev_i32_e32 v1, 31, v0
	s_delay_alu instid0(VALU_DEP_1)
	v_lshlrev_b64 v[3:4], 3, v[0:1]
	s_waitcnt lgkmcnt(0)
	s_lshl_b64 s[0:1], s[6:7], 3
	s_mul_i32 s2, s15, s23
	s_add_u32 s13, s4, s0
	s_addc_u32 s14, s5, s1
	s_lshl_b64 s[0:1], s[26:27], 3
	s_mul_hi_u32 s7, s15, s22
	s_add_u32 s23, s24, s0
	s_addc_u32 s24, s25, s1
	s_lshl_b64 s[0:1], s[18:19], 3
	s_mul_i32 s6, s15, s22
	s_add_u32 s16, s16, s0
	s_addc_u32 s1, s17, s1
	s_add_i32 s7, s7, s2
	s_mul_i32 s22, s15, s31
	s_lshl_b64 s[4:5], s[6:7], 3
	s_mul_hi_u32 s18, s15, s30
	s_mul_i32 s7, s15, s11
	s_add_u32 s11, s16, s4
	s_mul_i32 s0, s15, s30
	s_addc_u32 s16, s1, s5
	s_add_i32 s1, s18, s22
	s_mul_hi_u32 s17, s15, s10
	s_lshl_b64 s[4:5], s[0:1], 3
	s_mul_i32 s6, s15, s10
	s_add_u32 s1, s23, s4
	s_addc_u32 s2, s24, s5
	s_add_i32 s7, s17, s7
	v_add_co_u32 v0, vcc_lo, s11, v3
	s_lshl_b64 s[4:5], s[6:7], 3
	v_add_co_ci_u32_e32 v1, vcc_lo, s16, v4, vcc_lo
	s_add_u32 s0, s13, s4
	s_addc_u32 s4, s14, s5
	v_add_co_u32 v3, vcc_lo, s0, v3
	v_add_co_ci_u32_e32 v4, vcc_lo, s4, v4, vcc_lo
	s_lshl_b32 s4, s12, 4
	s_mov_b32 s5, 0
.LBB11_2:                               ; =>This Inner Loop Header: Depth=1
	v_ashrrev_i32_e32 v11, 31, v2
	v_mul_lo_u32 v9, v2, s21
	v_mad_u64_u32 v[5:6], null, v2, s20, 0
	v_mul_lo_u32 v10, v2, s29
	s_delay_alu instid0(VALU_DEP_4) | instskip(SKIP_3) | instid1(VALU_DEP_4)
	v_mul_lo_u32 v12, v11, s20
	v_mad_u64_u32 v[7:8], null, v2, s28, 0
	v_mul_lo_u32 v13, v11, s28
	v_mul_lo_u32 v11, v11, s8
	v_add3_u32 v6, v6, v9, v12
	v_mul_lo_u32 v12, v2, s9
	s_delay_alu instid0(VALU_DEP_4) | instskip(SKIP_1) | instid1(VALU_DEP_4)
	v_add3_u32 v8, v8, v10, v13
	v_mad_u64_u32 v[9:10], null, v2, s8, 0
	v_lshlrev_b64 v[5:6], 3, v[5:6]
	s_delay_alu instid0(VALU_DEP_3) | instskip(NEXT) | instid1(VALU_DEP_3)
	v_lshlrev_b64 v[7:8], 3, v[7:8]
	v_add3_u32 v10, v10, v12, v11
	s_delay_alu instid0(VALU_DEP_3) | instskip(NEXT) | instid1(VALU_DEP_4)
	v_add_co_u32 v5, vcc_lo, v0, v5
	v_add_co_ci_u32_e32 v6, vcc_lo, v1, v6, vcc_lo
	s_delay_alu instid0(VALU_DEP_4) | instskip(SKIP_4) | instid1(VALU_DEP_1)
	v_add_co_u32 v7, vcc_lo, s1, v7
	v_add_co_ci_u32_e32 v8, vcc_lo, s2, v8, vcc_lo
	global_load_b64 v[5:6], v[5:6], off
	global_load_b64 v[7:8], v[7:8], off
	v_lshlrev_b64 v[9:10], 3, v[9:10]
	v_add_co_u32 v12, s0, v3, v9
	s_delay_alu instid0(VALU_DEP_1) | instskip(SKIP_4) | instid1(VALU_DEP_3)
	v_add_co_ci_u32_e64 v13, s0, v4, v10, s0
	s_waitcnt vmcnt(0)
	v_mul_f32_e32 v11, v7, v6
	v_add_nc_u32_e32 v2, s4, v2
	v_mul_f32_e32 v14, v8, v6
	v_fmac_f32_e32 v11, v8, v5
	s_delay_alu instid0(VALU_DEP_3) | instskip(NEXT) | instid1(VALU_DEP_3)
	v_cmp_le_i32_e32 vcc_lo, s3, v2
	v_fma_f32 v10, v7, v5, -v14
	s_or_b32 s5, vcc_lo, s5
	global_store_b64 v[12:13], v[10:11], off
	s_and_not1_b32 exec_lo, exec_lo, s5
	s_cbranch_execnz .LBB11_2
.LBB11_3:
	s_nop 0
	s_sendmsg sendmsg(MSG_DEALLOC_VGPRS)
	s_endpgm
	.section	.rodata,"a",@progbits
	.p2align	6, 0x0
	.amdhsa_kernel _ZL19rocblas_dgmm_kernelILi16ELi16ELb1EPK19rocblas_complex_numIfEPS1_EviiT2_lllS5_lllT3_llli
		.amdhsa_group_segment_fixed_size 0
		.amdhsa_private_segment_fixed_size 0
		.amdhsa_kernarg_size 368
		.amdhsa_user_sgpr_count 13
		.amdhsa_user_sgpr_dispatch_ptr 0
		.amdhsa_user_sgpr_queue_ptr 0
		.amdhsa_user_sgpr_kernarg_segment_ptr 1
		.amdhsa_user_sgpr_dispatch_id 0
		.amdhsa_user_sgpr_private_segment_size 0
		.amdhsa_wavefront_size32 1
		.amdhsa_uses_dynamic_stack 0
		.amdhsa_enable_private_segment 0
		.amdhsa_system_sgpr_workgroup_id_x 1
		.amdhsa_system_sgpr_workgroup_id_y 1
		.amdhsa_system_sgpr_workgroup_id_z 1
		.amdhsa_system_sgpr_workgroup_info 0
		.amdhsa_system_vgpr_workitem_id 1
		.amdhsa_next_free_vgpr 15
		.amdhsa_next_free_sgpr 32
		.amdhsa_reserve_vcc 1
		.amdhsa_float_round_mode_32 0
		.amdhsa_float_round_mode_16_64 0
		.amdhsa_float_denorm_mode_32 3
		.amdhsa_float_denorm_mode_16_64 3
		.amdhsa_dx10_clamp 1
		.amdhsa_ieee_mode 1
		.amdhsa_fp16_overflow 0
		.amdhsa_workgroup_processor_mode 1
		.amdhsa_memory_ordered 1
		.amdhsa_forward_progress 0
		.amdhsa_shared_vgpr_count 0
		.amdhsa_exception_fp_ieee_invalid_op 0
		.amdhsa_exception_fp_denorm_src 0
		.amdhsa_exception_fp_ieee_div_zero 0
		.amdhsa_exception_fp_ieee_overflow 0
		.amdhsa_exception_fp_ieee_underflow 0
		.amdhsa_exception_fp_ieee_inexact 0
		.amdhsa_exception_int_div_zero 0
	.end_amdhsa_kernel
	.section	.text._ZL19rocblas_dgmm_kernelILi16ELi16ELb1EPK19rocblas_complex_numIfEPS1_EviiT2_lllS5_lllT3_llli,"axG",@progbits,_ZL19rocblas_dgmm_kernelILi16ELi16ELb1EPK19rocblas_complex_numIfEPS1_EviiT2_lllS5_lllT3_llli,comdat
.Lfunc_end11:
	.size	_ZL19rocblas_dgmm_kernelILi16ELi16ELb1EPK19rocblas_complex_numIfEPS1_EviiT2_lllS5_lllT3_llli, .Lfunc_end11-_ZL19rocblas_dgmm_kernelILi16ELi16ELb1EPK19rocblas_complex_numIfEPS1_EviiT2_lllS5_lllT3_llli
                                        ; -- End function
	.section	.AMDGPU.csdata,"",@progbits
; Kernel info:
; codeLenInByte = 552
; NumSgprs: 34
; NumVgprs: 15
; ScratchSize: 0
; MemoryBound: 0
; FloatMode: 240
; IeeeMode: 1
; LDSByteSize: 0 bytes/workgroup (compile time only)
; SGPRBlocks: 4
; VGPRBlocks: 1
; NumSGPRsForWavesPerEU: 34
; NumVGPRsForWavesPerEU: 15
; Occupancy: 16
; WaveLimiterHint : 0
; COMPUTE_PGM_RSRC2:SCRATCH_EN: 0
; COMPUTE_PGM_RSRC2:USER_SGPR: 13
; COMPUTE_PGM_RSRC2:TRAP_HANDLER: 0
; COMPUTE_PGM_RSRC2:TGID_X_EN: 1
; COMPUTE_PGM_RSRC2:TGID_Y_EN: 1
; COMPUTE_PGM_RSRC2:TGID_Z_EN: 1
; COMPUTE_PGM_RSRC2:TIDIG_COMP_CNT: 1
	.section	.text._ZL26rocblas_dgmm_gfx942_kernelILi32ELi32ELb0EPK19rocblas_complex_numIdEPS1_EviiT2_lllS5_lllT3_lll,"axG",@progbits,_ZL26rocblas_dgmm_gfx942_kernelILi32ELi32ELb0EPK19rocblas_complex_numIdEPS1_EviiT2_lllS5_lllT3_lll,comdat
	.globl	_ZL26rocblas_dgmm_gfx942_kernelILi32ELi32ELb0EPK19rocblas_complex_numIdEPS1_EviiT2_lllS5_lllT3_lll ; -- Begin function _ZL26rocblas_dgmm_gfx942_kernelILi32ELi32ELb0EPK19rocblas_complex_numIdEPS1_EviiT2_lllS5_lllT3_lll
	.p2align	8
	.type	_ZL26rocblas_dgmm_gfx942_kernelILi32ELi32ELb0EPK19rocblas_complex_numIdEPS1_EviiT2_lllS5_lllT3_lll,@function
_ZL26rocblas_dgmm_gfx942_kernelILi32ELi32ELb0EPK19rocblas_complex_numIdEPS1_EviiT2_lllS5_lllT3_lll: ; @_ZL26rocblas_dgmm_gfx942_kernelILi32ELi32ELb0EPK19rocblas_complex_numIdEPS1_EviiT2_lllS5_lllT3_lll
; %bb.0:
	s_endpgm
	.section	.rodata,"a",@progbits
	.p2align	6, 0x0
	.amdhsa_kernel _ZL26rocblas_dgmm_gfx942_kernelILi32ELi32ELb0EPK19rocblas_complex_numIdEPS1_EviiT2_lllS5_lllT3_lll
		.amdhsa_group_segment_fixed_size 0
		.amdhsa_private_segment_fixed_size 0
		.amdhsa_kernarg_size 104
		.amdhsa_user_sgpr_count 15
		.amdhsa_user_sgpr_dispatch_ptr 0
		.amdhsa_user_sgpr_queue_ptr 0
		.amdhsa_user_sgpr_kernarg_segment_ptr 1
		.amdhsa_user_sgpr_dispatch_id 0
		.amdhsa_user_sgpr_private_segment_size 0
		.amdhsa_wavefront_size32 1
		.amdhsa_uses_dynamic_stack 0
		.amdhsa_enable_private_segment 0
		.amdhsa_system_sgpr_workgroup_id_x 1
		.amdhsa_system_sgpr_workgroup_id_y 0
		.amdhsa_system_sgpr_workgroup_id_z 0
		.amdhsa_system_sgpr_workgroup_info 0
		.amdhsa_system_vgpr_workitem_id 0
		.amdhsa_next_free_vgpr 1
		.amdhsa_next_free_sgpr 1
		.amdhsa_reserve_vcc 0
		.amdhsa_float_round_mode_32 0
		.amdhsa_float_round_mode_16_64 0
		.amdhsa_float_denorm_mode_32 3
		.amdhsa_float_denorm_mode_16_64 3
		.amdhsa_dx10_clamp 1
		.amdhsa_ieee_mode 1
		.amdhsa_fp16_overflow 0
		.amdhsa_workgroup_processor_mode 1
		.amdhsa_memory_ordered 1
		.amdhsa_forward_progress 0
		.amdhsa_shared_vgpr_count 0
		.amdhsa_exception_fp_ieee_invalid_op 0
		.amdhsa_exception_fp_denorm_src 0
		.amdhsa_exception_fp_ieee_div_zero 0
		.amdhsa_exception_fp_ieee_overflow 0
		.amdhsa_exception_fp_ieee_underflow 0
		.amdhsa_exception_fp_ieee_inexact 0
		.amdhsa_exception_int_div_zero 0
	.end_amdhsa_kernel
	.section	.text._ZL26rocblas_dgmm_gfx942_kernelILi32ELi32ELb0EPK19rocblas_complex_numIdEPS1_EviiT2_lllS5_lllT3_lll,"axG",@progbits,_ZL26rocblas_dgmm_gfx942_kernelILi32ELi32ELb0EPK19rocblas_complex_numIdEPS1_EviiT2_lllS5_lllT3_lll,comdat
.Lfunc_end12:
	.size	_ZL26rocblas_dgmm_gfx942_kernelILi32ELi32ELb0EPK19rocblas_complex_numIdEPS1_EviiT2_lllS5_lllT3_lll, .Lfunc_end12-_ZL26rocblas_dgmm_gfx942_kernelILi32ELi32ELb0EPK19rocblas_complex_numIdEPS1_EviiT2_lllS5_lllT3_lll
                                        ; -- End function
	.section	.AMDGPU.csdata,"",@progbits
; Kernel info:
; codeLenInByte = 4
; NumSgprs: 0
; NumVgprs: 0
; ScratchSize: 0
; MemoryBound: 0
; FloatMode: 240
; IeeeMode: 1
; LDSByteSize: 0 bytes/workgroup (compile time only)
; SGPRBlocks: 0
; VGPRBlocks: 0
; NumSGPRsForWavesPerEU: 1
; NumVGPRsForWavesPerEU: 1
; Occupancy: 16
; WaveLimiterHint : 0
; COMPUTE_PGM_RSRC2:SCRATCH_EN: 0
; COMPUTE_PGM_RSRC2:USER_SGPR: 15
; COMPUTE_PGM_RSRC2:TRAP_HANDLER: 0
; COMPUTE_PGM_RSRC2:TGID_X_EN: 1
; COMPUTE_PGM_RSRC2:TGID_Y_EN: 0
; COMPUTE_PGM_RSRC2:TGID_Z_EN: 0
; COMPUTE_PGM_RSRC2:TIDIG_COMP_CNT: 0
	.section	.text._ZL19rocblas_dgmm_kernelILi16ELi16ELb0EPK19rocblas_complex_numIdEPS1_EviiT2_lllS5_lllT3_llli,"axG",@progbits,_ZL19rocblas_dgmm_kernelILi16ELi16ELb0EPK19rocblas_complex_numIdEPS1_EviiT2_lllS5_lllT3_llli,comdat
	.globl	_ZL19rocblas_dgmm_kernelILi16ELi16ELb0EPK19rocblas_complex_numIdEPS1_EviiT2_lllS5_lllT3_llli ; -- Begin function _ZL19rocblas_dgmm_kernelILi16ELi16ELb0EPK19rocblas_complex_numIdEPS1_EviiT2_lllS5_lllT3_llli
	.p2align	8
	.type	_ZL19rocblas_dgmm_kernelILi16ELi16ELb0EPK19rocblas_complex_numIdEPS1_EviiT2_lllS5_lllT3_llli,@function
_ZL19rocblas_dgmm_kernelILi16ELi16ELb0EPK19rocblas_complex_numIdEPS1_EviiT2_lllS5_lllT3_llli: ; @_ZL19rocblas_dgmm_kernelILi16ELi16ELb0EPK19rocblas_complex_numIdEPS1_EviiT2_lllS5_lllT3_llli
; %bb.0:
	s_load_b64 s[2:3], s[0:1], 0x0
	v_and_b32_e32 v1, 0x3ff, v0
	v_bfe_u32 v2, v0, 10, 10
	s_delay_alu instid0(VALU_DEP_2) | instskip(NEXT) | instid1(VALU_DEP_2)
	v_lshl_add_u32 v0, s13, 4, v1
	v_lshl_add_u32 v2, s14, 4, v2
	s_waitcnt lgkmcnt(0)
	s_delay_alu instid0(VALU_DEP_2) | instskip(NEXT) | instid1(VALU_DEP_2)
	v_cmp_gt_i32_e32 vcc_lo, s2, v0
	v_cmp_gt_i32_e64 s2, s3, v2
	s_delay_alu instid0(VALU_DEP_1) | instskip(NEXT) | instid1(SALU_CYCLE_1)
	s_and_b32 s2, vcc_lo, s2
	s_and_saveexec_b32 s4, s2
	s_cbranch_execz .LBB13_3
; %bb.1:
	s_clause 0x1
	s_load_b256 s[4:11], s[0:1], 0x48
	s_load_b512 s[16:31], s[0:1], 0x8
	v_ashrrev_i32_e32 v1, 31, v0
	s_load_b32 s2, s[0:1], 0x74
	s_delay_alu instid0(VALU_DEP_1)
	v_lshlrev_b64 v[5:6], 4, v[0:1]
	s_waitcnt lgkmcnt(0)
	s_lshl_b64 s[0:1], s[6:7], 4
	s_mul_i32 s7, s15, s23
	s_add_u32 s23, s4, s0
	v_mul_lo_u32 v7, v0, s29
	s_addc_u32 s29, s5, s1
	s_lshl_b64 s[0:1], s[26:27], 4
	v_mul_lo_u32 v1, v1, s28
	v_mad_u64_u32 v[3:4], null, v0, s28, 0
	s_add_u32 s5, s24, s0
	s_addc_u32 s24, s25, s1
	s_lshl_b64 s[0:1], s[18:19], 4
	s_mul_hi_u32 s13, s15, s22
	s_add_u32 s4, s16, s0
	s_mul_i32 s6, s15, s22
	s_addc_u32 s16, s17, s1
	s_add_i32 s7, s13, s7
	v_add3_u32 v4, v4, v7, v1
	s_lshl_b64 s[0:1], s[6:7], 4
	s_mul_i32 s14, s15, s31
	s_mul_hi_u32 s22, s15, s30
	s_add_u32 s7, s4, s0
	s_mul_i32 s12, s15, s30
	s_addc_u32 s16, s16, s1
	s_add_i32 s13, s22, s14
	v_lshlrev_b64 v[0:1], 4, v[3:4]
	s_lshl_b64 s[0:1], s[12:13], 4
	s_mul_i32 s11, s15, s11
	s_mul_hi_u32 s6, s15, s10
	s_mul_i32 s4, s15, s10
	s_add_u32 s10, s5, s0
	s_addc_u32 s12, s24, s1
	s_add_i32 s5, s6, s11
	v_add_co_u32 v3, vcc_lo, s7, v5
	s_lshl_b64 s[0:1], s[4:5], 4
	v_add_co_ci_u32_e32 v4, vcc_lo, s16, v6, vcc_lo
	v_add_co_u32 v0, vcc_lo, s10, v0
	s_add_u32 s0, s23, s0
	v_add_co_ci_u32_e32 v1, vcc_lo, s12, v1, vcc_lo
	s_addc_u32 s1, s29, s1
	v_add_co_u32 v5, vcc_lo, s0, v5
	v_add_co_ci_u32_e32 v6, vcc_lo, s1, v6, vcc_lo
	s_lshl_b32 s1, s2, 4
	s_mov_b32 s2, 0
	s_set_inst_prefetch_distance 0x1
	.p2align	6
.LBB13_2:                               ; =>This Inner Loop Header: Depth=1
	v_ashrrev_i32_e32 v17, 31, v2
	v_mul_lo_u32 v9, v2, s21
	v_mad_u64_u32 v[7:8], null, v2, s20, 0
	s_delay_alu instid0(VALU_DEP_3) | instskip(NEXT) | instid1(VALU_DEP_1)
	v_mul_lo_u32 v10, v17, s20
	v_add3_u32 v8, v8, v9, v10
	s_delay_alu instid0(VALU_DEP_1) | instskip(NEXT) | instid1(VALU_DEP_1)
	v_lshlrev_b64 v[7:8], 4, v[7:8]
	v_add_co_u32 v11, vcc_lo, v3, v7
	s_delay_alu instid0(VALU_DEP_2)
	v_add_co_ci_u32_e32 v12, vcc_lo, v4, v8, vcc_lo
	global_load_b128 v[7:10], v[0:1], off
	global_load_b128 v[11:14], v[11:12], off
	s_waitcnt vmcnt(0)
	v_mul_f64 v[15:16], v[9:10], v[13:14]
	v_mul_f64 v[13:14], v[7:8], v[13:14]
	s_delay_alu instid0(VALU_DEP_2) | instskip(NEXT) | instid1(VALU_DEP_2)
	v_fma_f64 v[7:8], v[7:8], v[11:12], -v[15:16]
	v_fma_f64 v[9:10], v[9:10], v[11:12], v[13:14]
	v_mul_lo_u32 v13, v2, s9
	v_mad_u64_u32 v[11:12], null, v2, s8, 0
	v_mul_lo_u32 v14, v17, s8
	v_add_nc_u32_e32 v2, s1, v2
	s_delay_alu instid0(VALU_DEP_1) | instskip(NEXT) | instid1(VALU_DEP_3)
	v_cmp_le_i32_e32 vcc_lo, s3, v2
	v_add3_u32 v12, v12, v13, v14
	s_or_b32 s2, vcc_lo, s2
	s_delay_alu instid0(VALU_DEP_1) | instskip(NEXT) | instid1(VALU_DEP_1)
	v_lshlrev_b64 v[11:12], 4, v[11:12]
	v_add_co_u32 v11, s0, v5, v11
	s_delay_alu instid0(VALU_DEP_1)
	v_add_co_ci_u32_e64 v12, s0, v6, v12, s0
	global_store_b128 v[11:12], v[7:10], off
	s_and_not1_b32 exec_lo, exec_lo, s2
	s_cbranch_execnz .LBB13_2
.LBB13_3:
	s_set_inst_prefetch_distance 0x2
	s_nop 0
	s_sendmsg sendmsg(MSG_DEALLOC_VGPRS)
	s_endpgm
	.section	.rodata,"a",@progbits
	.p2align	6, 0x0
	.amdhsa_kernel _ZL19rocblas_dgmm_kernelILi16ELi16ELb0EPK19rocblas_complex_numIdEPS1_EviiT2_lllS5_lllT3_llli
		.amdhsa_group_segment_fixed_size 0
		.amdhsa_private_segment_fixed_size 0
		.amdhsa_kernarg_size 368
		.amdhsa_user_sgpr_count 13
		.amdhsa_user_sgpr_dispatch_ptr 0
		.amdhsa_user_sgpr_queue_ptr 0
		.amdhsa_user_sgpr_kernarg_segment_ptr 1
		.amdhsa_user_sgpr_dispatch_id 0
		.amdhsa_user_sgpr_private_segment_size 0
		.amdhsa_wavefront_size32 1
		.amdhsa_uses_dynamic_stack 0
		.amdhsa_enable_private_segment 0
		.amdhsa_system_sgpr_workgroup_id_x 1
		.amdhsa_system_sgpr_workgroup_id_y 1
		.amdhsa_system_sgpr_workgroup_id_z 1
		.amdhsa_system_sgpr_workgroup_info 0
		.amdhsa_system_vgpr_workitem_id 1
		.amdhsa_next_free_vgpr 18
		.amdhsa_next_free_sgpr 32
		.amdhsa_reserve_vcc 1
		.amdhsa_float_round_mode_32 0
		.amdhsa_float_round_mode_16_64 0
		.amdhsa_float_denorm_mode_32 3
		.amdhsa_float_denorm_mode_16_64 3
		.amdhsa_dx10_clamp 1
		.amdhsa_ieee_mode 1
		.amdhsa_fp16_overflow 0
		.amdhsa_workgroup_processor_mode 1
		.amdhsa_memory_ordered 1
		.amdhsa_forward_progress 0
		.amdhsa_shared_vgpr_count 0
		.amdhsa_exception_fp_ieee_invalid_op 0
		.amdhsa_exception_fp_denorm_src 0
		.amdhsa_exception_fp_ieee_div_zero 0
		.amdhsa_exception_fp_ieee_overflow 0
		.amdhsa_exception_fp_ieee_underflow 0
		.amdhsa_exception_fp_ieee_inexact 0
		.amdhsa_exception_int_div_zero 0
	.end_amdhsa_kernel
	.section	.text._ZL19rocblas_dgmm_kernelILi16ELi16ELb0EPK19rocblas_complex_numIdEPS1_EviiT2_lllS5_lllT3_llli,"axG",@progbits,_ZL19rocblas_dgmm_kernelILi16ELi16ELb0EPK19rocblas_complex_numIdEPS1_EviiT2_lllS5_lllT3_llli,comdat
.Lfunc_end13:
	.size	_ZL19rocblas_dgmm_kernelILi16ELi16ELb0EPK19rocblas_complex_numIdEPS1_EviiT2_lllS5_lllT3_llli, .Lfunc_end13-_ZL19rocblas_dgmm_kernelILi16ELi16ELb0EPK19rocblas_complex_numIdEPS1_EviiT2_lllS5_lllT3_llli
                                        ; -- End function
	.section	.AMDGPU.csdata,"",@progbits
; Kernel info:
; codeLenInByte = 572
; NumSgprs: 34
; NumVgprs: 18
; ScratchSize: 0
; MemoryBound: 0
; FloatMode: 240
; IeeeMode: 1
; LDSByteSize: 0 bytes/workgroup (compile time only)
; SGPRBlocks: 4
; VGPRBlocks: 2
; NumSGPRsForWavesPerEU: 34
; NumVGPRsForWavesPerEU: 18
; Occupancy: 16
; WaveLimiterHint : 0
; COMPUTE_PGM_RSRC2:SCRATCH_EN: 0
; COMPUTE_PGM_RSRC2:USER_SGPR: 13
; COMPUTE_PGM_RSRC2:TRAP_HANDLER: 0
; COMPUTE_PGM_RSRC2:TGID_X_EN: 1
; COMPUTE_PGM_RSRC2:TGID_Y_EN: 1
; COMPUTE_PGM_RSRC2:TGID_Z_EN: 1
; COMPUTE_PGM_RSRC2:TIDIG_COMP_CNT: 1
	.section	.text._ZL26rocblas_dgmm_gfx942_kernelILi32ELi32ELb1EPK19rocblas_complex_numIdEPS1_EviiT2_lllS5_lllT3_lll,"axG",@progbits,_ZL26rocblas_dgmm_gfx942_kernelILi32ELi32ELb1EPK19rocblas_complex_numIdEPS1_EviiT2_lllS5_lllT3_lll,comdat
	.globl	_ZL26rocblas_dgmm_gfx942_kernelILi32ELi32ELb1EPK19rocblas_complex_numIdEPS1_EviiT2_lllS5_lllT3_lll ; -- Begin function _ZL26rocblas_dgmm_gfx942_kernelILi32ELi32ELb1EPK19rocblas_complex_numIdEPS1_EviiT2_lllS5_lllT3_lll
	.p2align	8
	.type	_ZL26rocblas_dgmm_gfx942_kernelILi32ELi32ELb1EPK19rocblas_complex_numIdEPS1_EviiT2_lllS5_lllT3_lll,@function
_ZL26rocblas_dgmm_gfx942_kernelILi32ELi32ELb1EPK19rocblas_complex_numIdEPS1_EviiT2_lllS5_lllT3_lll: ; @_ZL26rocblas_dgmm_gfx942_kernelILi32ELi32ELb1EPK19rocblas_complex_numIdEPS1_EviiT2_lllS5_lllT3_lll
; %bb.0:
	s_endpgm
	.section	.rodata,"a",@progbits
	.p2align	6, 0x0
	.amdhsa_kernel _ZL26rocblas_dgmm_gfx942_kernelILi32ELi32ELb1EPK19rocblas_complex_numIdEPS1_EviiT2_lllS5_lllT3_lll
		.amdhsa_group_segment_fixed_size 0
		.amdhsa_private_segment_fixed_size 0
		.amdhsa_kernarg_size 104
		.amdhsa_user_sgpr_count 15
		.amdhsa_user_sgpr_dispatch_ptr 0
		.amdhsa_user_sgpr_queue_ptr 0
		.amdhsa_user_sgpr_kernarg_segment_ptr 1
		.amdhsa_user_sgpr_dispatch_id 0
		.amdhsa_user_sgpr_private_segment_size 0
		.amdhsa_wavefront_size32 1
		.amdhsa_uses_dynamic_stack 0
		.amdhsa_enable_private_segment 0
		.amdhsa_system_sgpr_workgroup_id_x 1
		.amdhsa_system_sgpr_workgroup_id_y 0
		.amdhsa_system_sgpr_workgroup_id_z 0
		.amdhsa_system_sgpr_workgroup_info 0
		.amdhsa_system_vgpr_workitem_id 0
		.amdhsa_next_free_vgpr 1
		.amdhsa_next_free_sgpr 1
		.amdhsa_reserve_vcc 0
		.amdhsa_float_round_mode_32 0
		.amdhsa_float_round_mode_16_64 0
		.amdhsa_float_denorm_mode_32 3
		.amdhsa_float_denorm_mode_16_64 3
		.amdhsa_dx10_clamp 1
		.amdhsa_ieee_mode 1
		.amdhsa_fp16_overflow 0
		.amdhsa_workgroup_processor_mode 1
		.amdhsa_memory_ordered 1
		.amdhsa_forward_progress 0
		.amdhsa_shared_vgpr_count 0
		.amdhsa_exception_fp_ieee_invalid_op 0
		.amdhsa_exception_fp_denorm_src 0
		.amdhsa_exception_fp_ieee_div_zero 0
		.amdhsa_exception_fp_ieee_overflow 0
		.amdhsa_exception_fp_ieee_underflow 0
		.amdhsa_exception_fp_ieee_inexact 0
		.amdhsa_exception_int_div_zero 0
	.end_amdhsa_kernel
	.section	.text._ZL26rocblas_dgmm_gfx942_kernelILi32ELi32ELb1EPK19rocblas_complex_numIdEPS1_EviiT2_lllS5_lllT3_lll,"axG",@progbits,_ZL26rocblas_dgmm_gfx942_kernelILi32ELi32ELb1EPK19rocblas_complex_numIdEPS1_EviiT2_lllS5_lllT3_lll,comdat
.Lfunc_end14:
	.size	_ZL26rocblas_dgmm_gfx942_kernelILi32ELi32ELb1EPK19rocblas_complex_numIdEPS1_EviiT2_lllS5_lllT3_lll, .Lfunc_end14-_ZL26rocblas_dgmm_gfx942_kernelILi32ELi32ELb1EPK19rocblas_complex_numIdEPS1_EviiT2_lllS5_lllT3_lll
                                        ; -- End function
	.section	.AMDGPU.csdata,"",@progbits
; Kernel info:
; codeLenInByte = 4
; NumSgprs: 0
; NumVgprs: 0
; ScratchSize: 0
; MemoryBound: 0
; FloatMode: 240
; IeeeMode: 1
; LDSByteSize: 0 bytes/workgroup (compile time only)
; SGPRBlocks: 0
; VGPRBlocks: 0
; NumSGPRsForWavesPerEU: 1
; NumVGPRsForWavesPerEU: 1
; Occupancy: 16
; WaveLimiterHint : 0
; COMPUTE_PGM_RSRC2:SCRATCH_EN: 0
; COMPUTE_PGM_RSRC2:USER_SGPR: 15
; COMPUTE_PGM_RSRC2:TRAP_HANDLER: 0
; COMPUTE_PGM_RSRC2:TGID_X_EN: 1
; COMPUTE_PGM_RSRC2:TGID_Y_EN: 0
; COMPUTE_PGM_RSRC2:TGID_Z_EN: 0
; COMPUTE_PGM_RSRC2:TIDIG_COMP_CNT: 0
	.section	.text._ZL19rocblas_dgmm_kernelILi16ELi16ELb1EPK19rocblas_complex_numIdEPS1_EviiT2_lllS5_lllT3_llli,"axG",@progbits,_ZL19rocblas_dgmm_kernelILi16ELi16ELb1EPK19rocblas_complex_numIdEPS1_EviiT2_lllS5_lllT3_llli,comdat
	.globl	_ZL19rocblas_dgmm_kernelILi16ELi16ELb1EPK19rocblas_complex_numIdEPS1_EviiT2_lllS5_lllT3_llli ; -- Begin function _ZL19rocblas_dgmm_kernelILi16ELi16ELb1EPK19rocblas_complex_numIdEPS1_EviiT2_lllS5_lllT3_llli
	.p2align	8
	.type	_ZL19rocblas_dgmm_kernelILi16ELi16ELb1EPK19rocblas_complex_numIdEPS1_EviiT2_lllS5_lllT3_llli,@function
_ZL19rocblas_dgmm_kernelILi16ELi16ELb1EPK19rocblas_complex_numIdEPS1_EviiT2_lllS5_lllT3_llli: ; @_ZL19rocblas_dgmm_kernelILi16ELi16ELb1EPK19rocblas_complex_numIdEPS1_EviiT2_lllS5_lllT3_llli
; %bb.0:
	s_load_b64 s[2:3], s[0:1], 0x0
	v_and_b32_e32 v1, 0x3ff, v0
	v_bfe_u32 v2, v0, 10, 10
	s_delay_alu instid0(VALU_DEP_2) | instskip(NEXT) | instid1(VALU_DEP_2)
	v_lshl_add_u32 v0, s13, 4, v1
	v_lshl_add_u32 v2, s14, 4, v2
	s_waitcnt lgkmcnt(0)
	s_delay_alu instid0(VALU_DEP_2) | instskip(NEXT) | instid1(VALU_DEP_2)
	v_cmp_gt_i32_e32 vcc_lo, s2, v0
	v_cmp_gt_i32_e64 s2, s3, v2
	s_delay_alu instid0(VALU_DEP_1) | instskip(NEXT) | instid1(SALU_CYCLE_1)
	s_and_b32 s2, vcc_lo, s2
	s_and_saveexec_b32 s4, s2
	s_cbranch_execz .LBB15_3
; %bb.1:
	s_clause 0x2
	s_load_b256 s[4:11], s[0:1], 0x48
	s_load_b512 s[16:31], s[0:1], 0x8
	s_load_b32 s12, s[0:1], 0x74
	v_ashrrev_i32_e32 v1, 31, v0
	s_delay_alu instid0(VALU_DEP_1)
	v_lshlrev_b64 v[3:4], 4, v[0:1]
	s_waitcnt lgkmcnt(0)
	s_lshl_b64 s[0:1], s[6:7], 4
	s_mul_i32 s2, s15, s23
	s_add_u32 s13, s4, s0
	s_addc_u32 s14, s5, s1
	s_lshl_b64 s[0:1], s[26:27], 4
	s_mul_hi_u32 s7, s15, s22
	s_add_u32 s23, s24, s0
	s_addc_u32 s24, s25, s1
	s_lshl_b64 s[0:1], s[18:19], 4
	s_mul_i32 s6, s15, s22
	s_add_u32 s16, s16, s0
	s_addc_u32 s1, s17, s1
	s_add_i32 s7, s7, s2
	s_mul_i32 s22, s15, s31
	s_lshl_b64 s[4:5], s[6:7], 4
	s_mul_hi_u32 s18, s15, s30
	s_mul_i32 s7, s15, s11
	s_add_u32 s11, s16, s4
	s_mul_i32 s0, s15, s30
	s_addc_u32 s16, s1, s5
	s_add_i32 s1, s18, s22
	s_mul_hi_u32 s17, s15, s10
	s_lshl_b64 s[4:5], s[0:1], 4
	s_mul_i32 s6, s15, s10
	s_add_u32 s1, s23, s4
	s_addc_u32 s2, s24, s5
	s_add_i32 s7, s17, s7
	v_add_co_u32 v0, vcc_lo, s11, v3
	s_lshl_b64 s[4:5], s[6:7], 4
	v_add_co_ci_u32_e32 v1, vcc_lo, s16, v4, vcc_lo
	s_add_u32 s0, s13, s4
	s_addc_u32 s4, s14, s5
	v_add_co_u32 v3, vcc_lo, s0, v3
	v_add_co_ci_u32_e32 v4, vcc_lo, s4, v4, vcc_lo
	s_lshl_b32 s4, s12, 4
	s_mov_b32 s5, 0
.LBB15_2:                               ; =>This Inner Loop Header: Depth=1
	v_ashrrev_i32_e32 v15, 31, v2
	v_mul_lo_u32 v10, v2, s29
	v_mad_u64_u32 v[7:8], null, v2, s28, 0
	v_mul_lo_u32 v9, v2, s21
	s_delay_alu instid0(VALU_DEP_4) | instskip(SKIP_2) | instid1(VALU_DEP_3)
	v_mul_lo_u32 v11, v15, s28
	v_mad_u64_u32 v[5:6], null, v2, s20, 0
	v_mul_lo_u32 v12, v15, s20
	v_add3_u32 v8, v8, v10, v11
	s_delay_alu instid0(VALU_DEP_2) | instskip(NEXT) | instid1(VALU_DEP_2)
	v_add3_u32 v6, v6, v9, v12
	v_lshlrev_b64 v[7:8], 4, v[7:8]
	s_delay_alu instid0(VALU_DEP_2) | instskip(NEXT) | instid1(VALU_DEP_2)
	v_lshlrev_b64 v[5:6], 4, v[5:6]
	v_add_co_u32 v7, vcc_lo, s1, v7
	s_delay_alu instid0(VALU_DEP_3) | instskip(NEXT) | instid1(VALU_DEP_3)
	v_add_co_ci_u32_e32 v8, vcc_lo, s2, v8, vcc_lo
	v_add_co_u32 v9, vcc_lo, v0, v5
	s_delay_alu instid0(VALU_DEP_4)
	v_add_co_ci_u32_e32 v10, vcc_lo, v1, v6, vcc_lo
	global_load_b128 v[5:8], v[7:8], off
	global_load_b128 v[9:12], v[9:10], off
	s_waitcnt vmcnt(0)
	v_mul_f64 v[13:14], v[7:8], v[11:12]
	v_mul_f64 v[11:12], v[5:6], v[11:12]
	s_delay_alu instid0(VALU_DEP_2) | instskip(NEXT) | instid1(VALU_DEP_2)
	v_fma_f64 v[5:6], v[5:6], v[9:10], -v[13:14]
	v_fma_f64 v[7:8], v[7:8], v[9:10], v[11:12]
	v_mul_lo_u32 v11, v2, s9
	v_mad_u64_u32 v[9:10], null, v2, s8, 0
	v_mul_lo_u32 v12, v15, s8
	v_add_nc_u32_e32 v2, s4, v2
	s_delay_alu instid0(VALU_DEP_1) | instskip(NEXT) | instid1(VALU_DEP_3)
	v_cmp_le_i32_e32 vcc_lo, s3, v2
	v_add3_u32 v10, v10, v11, v12
	s_or_b32 s5, vcc_lo, s5
	s_delay_alu instid0(VALU_DEP_1) | instskip(NEXT) | instid1(VALU_DEP_1)
	v_lshlrev_b64 v[9:10], 4, v[9:10]
	v_add_co_u32 v9, s0, v3, v9
	s_delay_alu instid0(VALU_DEP_1)
	v_add_co_ci_u32_e64 v10, s0, v4, v10, s0
	global_store_b128 v[9:10], v[5:8], off
	s_and_not1_b32 exec_lo, exec_lo, s5
	s_cbranch_execnz .LBB15_2
.LBB15_3:
	s_nop 0
	s_sendmsg sendmsg(MSG_DEALLOC_VGPRS)
	s_endpgm
	.section	.rodata,"a",@progbits
	.p2align	6, 0x0
	.amdhsa_kernel _ZL19rocblas_dgmm_kernelILi16ELi16ELb1EPK19rocblas_complex_numIdEPS1_EviiT2_lllS5_lllT3_llli
		.amdhsa_group_segment_fixed_size 0
		.amdhsa_private_segment_fixed_size 0
		.amdhsa_kernarg_size 368
		.amdhsa_user_sgpr_count 13
		.amdhsa_user_sgpr_dispatch_ptr 0
		.amdhsa_user_sgpr_queue_ptr 0
		.amdhsa_user_sgpr_kernarg_segment_ptr 1
		.amdhsa_user_sgpr_dispatch_id 0
		.amdhsa_user_sgpr_private_segment_size 0
		.amdhsa_wavefront_size32 1
		.amdhsa_uses_dynamic_stack 0
		.amdhsa_enable_private_segment 0
		.amdhsa_system_sgpr_workgroup_id_x 1
		.amdhsa_system_sgpr_workgroup_id_y 1
		.amdhsa_system_sgpr_workgroup_id_z 1
		.amdhsa_system_sgpr_workgroup_info 0
		.amdhsa_system_vgpr_workitem_id 1
		.amdhsa_next_free_vgpr 16
		.amdhsa_next_free_sgpr 32
		.amdhsa_reserve_vcc 1
		.amdhsa_float_round_mode_32 0
		.amdhsa_float_round_mode_16_64 0
		.amdhsa_float_denorm_mode_32 3
		.amdhsa_float_denorm_mode_16_64 3
		.amdhsa_dx10_clamp 1
		.amdhsa_ieee_mode 1
		.amdhsa_fp16_overflow 0
		.amdhsa_workgroup_processor_mode 1
		.amdhsa_memory_ordered 1
		.amdhsa_forward_progress 0
		.amdhsa_shared_vgpr_count 0
		.amdhsa_exception_fp_ieee_invalid_op 0
		.amdhsa_exception_fp_denorm_src 0
		.amdhsa_exception_fp_ieee_div_zero 0
		.amdhsa_exception_fp_ieee_overflow 0
		.amdhsa_exception_fp_ieee_underflow 0
		.amdhsa_exception_fp_ieee_inexact 0
		.amdhsa_exception_int_div_zero 0
	.end_amdhsa_kernel
	.section	.text._ZL19rocblas_dgmm_kernelILi16ELi16ELb1EPK19rocblas_complex_numIdEPS1_EviiT2_lllS5_lllT3_llli,"axG",@progbits,_ZL19rocblas_dgmm_kernelILi16ELi16ELb1EPK19rocblas_complex_numIdEPS1_EviiT2_lllS5_lllT3_llli,comdat
.Lfunc_end15:
	.size	_ZL19rocblas_dgmm_kernelILi16ELi16ELb1EPK19rocblas_complex_numIdEPS1_EviiT2_lllS5_lllT3_llli, .Lfunc_end15-_ZL19rocblas_dgmm_kernelILi16ELi16ELb1EPK19rocblas_complex_numIdEPS1_EviiT2_lllS5_lllT3_llli
                                        ; -- End function
	.section	.AMDGPU.csdata,"",@progbits
; Kernel info:
; codeLenInByte = 572
; NumSgprs: 34
; NumVgprs: 16
; ScratchSize: 0
; MemoryBound: 0
; FloatMode: 240
; IeeeMode: 1
; LDSByteSize: 0 bytes/workgroup (compile time only)
; SGPRBlocks: 4
; VGPRBlocks: 1
; NumSGPRsForWavesPerEU: 34
; NumVGPRsForWavesPerEU: 16
; Occupancy: 16
; WaveLimiterHint : 0
; COMPUTE_PGM_RSRC2:SCRATCH_EN: 0
; COMPUTE_PGM_RSRC2:USER_SGPR: 13
; COMPUTE_PGM_RSRC2:TRAP_HANDLER: 0
; COMPUTE_PGM_RSRC2:TGID_X_EN: 1
; COMPUTE_PGM_RSRC2:TGID_Y_EN: 1
; COMPUTE_PGM_RSRC2:TGID_Z_EN: 1
; COMPUTE_PGM_RSRC2:TIDIG_COMP_CNT: 1
	.section	.text._ZL26rocblas_dgmm_gfx942_kernelILi32ELi32ELb0EPKPKfPKPfEviiT2_lllS7_lllT3_lll,"axG",@progbits,_ZL26rocblas_dgmm_gfx942_kernelILi32ELi32ELb0EPKPKfPKPfEviiT2_lllS7_lllT3_lll,comdat
	.globl	_ZL26rocblas_dgmm_gfx942_kernelILi32ELi32ELb0EPKPKfPKPfEviiT2_lllS7_lllT3_lll ; -- Begin function _ZL26rocblas_dgmm_gfx942_kernelILi32ELi32ELb0EPKPKfPKPfEviiT2_lllS7_lllT3_lll
	.p2align	8
	.type	_ZL26rocblas_dgmm_gfx942_kernelILi32ELi32ELb0EPKPKfPKPfEviiT2_lllS7_lllT3_lll,@function
_ZL26rocblas_dgmm_gfx942_kernelILi32ELi32ELb0EPKPKfPKPfEviiT2_lllS7_lllT3_lll: ; @_ZL26rocblas_dgmm_gfx942_kernelILi32ELi32ELb0EPKPKfPKPfEviiT2_lllS7_lllT3_lll
; %bb.0:
	s_endpgm
	.section	.rodata,"a",@progbits
	.p2align	6, 0x0
	.amdhsa_kernel _ZL26rocblas_dgmm_gfx942_kernelILi32ELi32ELb0EPKPKfPKPfEviiT2_lllS7_lllT3_lll
		.amdhsa_group_segment_fixed_size 0
		.amdhsa_private_segment_fixed_size 0
		.amdhsa_kernarg_size 104
		.amdhsa_user_sgpr_count 15
		.amdhsa_user_sgpr_dispatch_ptr 0
		.amdhsa_user_sgpr_queue_ptr 0
		.amdhsa_user_sgpr_kernarg_segment_ptr 1
		.amdhsa_user_sgpr_dispatch_id 0
		.amdhsa_user_sgpr_private_segment_size 0
		.amdhsa_wavefront_size32 1
		.amdhsa_uses_dynamic_stack 0
		.amdhsa_enable_private_segment 0
		.amdhsa_system_sgpr_workgroup_id_x 1
		.amdhsa_system_sgpr_workgroup_id_y 0
		.amdhsa_system_sgpr_workgroup_id_z 0
		.amdhsa_system_sgpr_workgroup_info 0
		.amdhsa_system_vgpr_workitem_id 0
		.amdhsa_next_free_vgpr 1
		.amdhsa_next_free_sgpr 1
		.amdhsa_reserve_vcc 0
		.amdhsa_float_round_mode_32 0
		.amdhsa_float_round_mode_16_64 0
		.amdhsa_float_denorm_mode_32 3
		.amdhsa_float_denorm_mode_16_64 3
		.amdhsa_dx10_clamp 1
		.amdhsa_ieee_mode 1
		.amdhsa_fp16_overflow 0
		.amdhsa_workgroup_processor_mode 1
		.amdhsa_memory_ordered 1
		.amdhsa_forward_progress 0
		.amdhsa_shared_vgpr_count 0
		.amdhsa_exception_fp_ieee_invalid_op 0
		.amdhsa_exception_fp_denorm_src 0
		.amdhsa_exception_fp_ieee_div_zero 0
		.amdhsa_exception_fp_ieee_overflow 0
		.amdhsa_exception_fp_ieee_underflow 0
		.amdhsa_exception_fp_ieee_inexact 0
		.amdhsa_exception_int_div_zero 0
	.end_amdhsa_kernel
	.section	.text._ZL26rocblas_dgmm_gfx942_kernelILi32ELi32ELb0EPKPKfPKPfEviiT2_lllS7_lllT3_lll,"axG",@progbits,_ZL26rocblas_dgmm_gfx942_kernelILi32ELi32ELb0EPKPKfPKPfEviiT2_lllS7_lllT3_lll,comdat
.Lfunc_end16:
	.size	_ZL26rocblas_dgmm_gfx942_kernelILi32ELi32ELb0EPKPKfPKPfEviiT2_lllS7_lllT3_lll, .Lfunc_end16-_ZL26rocblas_dgmm_gfx942_kernelILi32ELi32ELb0EPKPKfPKPfEviiT2_lllS7_lllT3_lll
                                        ; -- End function
	.section	.AMDGPU.csdata,"",@progbits
; Kernel info:
; codeLenInByte = 4
; NumSgprs: 0
; NumVgprs: 0
; ScratchSize: 0
; MemoryBound: 0
; FloatMode: 240
; IeeeMode: 1
; LDSByteSize: 0 bytes/workgroup (compile time only)
; SGPRBlocks: 0
; VGPRBlocks: 0
; NumSGPRsForWavesPerEU: 1
; NumVGPRsForWavesPerEU: 1
; Occupancy: 16
; WaveLimiterHint : 0
; COMPUTE_PGM_RSRC2:SCRATCH_EN: 0
; COMPUTE_PGM_RSRC2:USER_SGPR: 15
; COMPUTE_PGM_RSRC2:TRAP_HANDLER: 0
; COMPUTE_PGM_RSRC2:TGID_X_EN: 1
; COMPUTE_PGM_RSRC2:TGID_Y_EN: 0
; COMPUTE_PGM_RSRC2:TGID_Z_EN: 0
; COMPUTE_PGM_RSRC2:TIDIG_COMP_CNT: 0
	.section	.text._ZL19rocblas_dgmm_kernelILi16ELi16ELb0EPKPKfPKPfEviiT2_lllS7_lllT3_llli,"axG",@progbits,_ZL19rocblas_dgmm_kernelILi16ELi16ELb0EPKPKfPKPfEviiT2_lllS7_lllT3_llli,comdat
	.globl	_ZL19rocblas_dgmm_kernelILi16ELi16ELb0EPKPKfPKPfEviiT2_lllS7_lllT3_llli ; -- Begin function _ZL19rocblas_dgmm_kernelILi16ELi16ELb0EPKPKfPKPfEviiT2_lllS7_lllT3_llli
	.p2align	8
	.type	_ZL19rocblas_dgmm_kernelILi16ELi16ELb0EPKPKfPKPfEviiT2_lllS7_lllT3_llli,@function
_ZL19rocblas_dgmm_kernelILi16ELi16ELb0EPKPKfPKPfEviiT2_lllS7_lllT3_llli: ; @_ZL19rocblas_dgmm_kernelILi16ELi16ELb0EPKPKfPKPfEviiT2_lllS7_lllT3_llli
; %bb.0:
	s_load_b64 s[2:3], s[0:1], 0x0
	v_and_b32_e32 v1, 0x3ff, v0
	v_bfe_u32 v2, v0, 10, 10
	s_delay_alu instid0(VALU_DEP_2) | instskip(NEXT) | instid1(VALU_DEP_2)
	v_lshl_add_u32 v0, s13, 4, v1
	v_lshl_add_u32 v2, s14, 4, v2
	s_waitcnt lgkmcnt(0)
	s_delay_alu instid0(VALU_DEP_2) | instskip(NEXT) | instid1(VALU_DEP_2)
	v_cmp_gt_i32_e32 vcc_lo, s2, v0
	v_cmp_gt_i32_e64 s2, s3, v2
	s_delay_alu instid0(VALU_DEP_1) | instskip(NEXT) | instid1(SALU_CYCLE_1)
	s_and_b32 s2, vcc_lo, s2
	s_and_saveexec_b32 s5, s2
	s_cbranch_execz .LBB17_3
; %bb.1:
	s_clause 0x1
	s_load_b128 s[8:11], s[0:1], 0x8
	s_load_b64 s[6:7], s[0:1], 0x18
	s_mov_b32 s4, s15
	s_mov_b32 s5, 0
	s_load_b64 s[18:19], s[0:1], 0x38
	s_lshl_b64 s[16:17], s[4:5], 3
	v_ashrrev_i32_e32 v1, 31, v0
	s_waitcnt lgkmcnt(0)
	s_add_u32 s8, s8, s16
	s_addc_u32 s9, s9, s17
	s_lshl_b64 s[10:11], s[10:11], 2
	s_load_b64 s[8:9], s[8:9], 0x0
	s_load_b128 s[12:15], s[0:1], 0x28
	v_mul_lo_u32 v5, v0, s19
	v_mul_lo_u32 v6, v1, s18
	v_mad_u64_u32 v[3:4], null, v0, s18, 0
	s_delay_alu instid0(VALU_DEP_1) | instskip(SKIP_1) | instid1(VALU_DEP_2)
	v_add3_u32 v4, v4, v5, v6
	v_lshlrev_b64 v[5:6], 2, v[0:1]
	v_lshlrev_b64 v[0:1], 2, v[3:4]
	s_waitcnt lgkmcnt(0)
	s_add_u32 s2, s8, s10
	s_addc_u32 s4, s9, s11
	s_add_u32 s8, s12, s16
	s_addc_u32 s9, s13, s17
	s_lshl_b64 s[14:15], s[14:15], 2
	s_load_b64 s[12:13], s[8:9], 0x0
	s_load_b128 s[8:11], s[0:1], 0x48
	v_add_co_u32 v3, vcc_lo, s2, v5
	v_add_co_ci_u32_e32 v4, vcc_lo, s4, v6, vcc_lo
	s_waitcnt lgkmcnt(0)
	s_add_u32 s14, s12, s14
	s_addc_u32 s15, s13, s15
	s_add_u32 s8, s8, s16
	s_addc_u32 s9, s9, s17
	v_add_co_u32 v0, vcc_lo, s14, v0
	s_load_b64 s[12:13], s[8:9], 0x0
	s_clause 0x1
	s_load_b32 s16, s[0:1], 0x74
	s_load_b64 s[8:9], s[0:1], 0x58
	s_lshl_b64 s[0:1], s[10:11], 2
	v_add_co_ci_u32_e32 v1, vcc_lo, s15, v1, vcc_lo
	s_waitcnt lgkmcnt(0)
	s_add_u32 s0, s12, s0
	s_addc_u32 s1, s13, s1
	v_add_co_u32 v5, vcc_lo, s0, v5
	v_add_co_ci_u32_e32 v6, vcc_lo, s1, v6, vcc_lo
	s_lshl_b32 s1, s16, 4
	s_set_inst_prefetch_distance 0x1
	.p2align	6
.LBB17_2:                               ; =>This Inner Loop Header: Depth=1
	v_ashrrev_i32_e32 v9, 31, v2
	v_mul_lo_u32 v10, v2, s7
	v_mad_u64_u32 v[7:8], null, v2, s6, 0
	v_mul_lo_u32 v12, v2, s9
	s_delay_alu instid0(VALU_DEP_4) | instskip(SKIP_1) | instid1(VALU_DEP_2)
	v_mul_lo_u32 v11, v9, s6
	v_mul_lo_u32 v9, v9, s8
	v_add3_u32 v8, v8, v10, v11
	s_delay_alu instid0(VALU_DEP_1) | instskip(NEXT) | instid1(VALU_DEP_1)
	v_lshlrev_b64 v[7:8], 2, v[7:8]
	v_add_co_u32 v7, vcc_lo, v3, v7
	s_delay_alu instid0(VALU_DEP_2) | instskip(SKIP_4) | instid1(VALU_DEP_1)
	v_add_co_ci_u32_e32 v8, vcc_lo, v4, v8, vcc_lo
	global_load_b32 v10, v[0:1], off
	global_load_b32 v11, v[7:8], off
	v_mad_u64_u32 v[7:8], null, v2, s8, 0
	v_add_nc_u32_e32 v2, s1, v2
	v_cmp_le_i32_e32 vcc_lo, s3, v2
	s_delay_alu instid0(VALU_DEP_3) | instskip(SKIP_1) | instid1(VALU_DEP_1)
	v_add3_u32 v8, v8, v12, v9
	s_or_b32 s5, vcc_lo, s5
	v_lshlrev_b64 v[7:8], 2, v[7:8]
	s_delay_alu instid0(VALU_DEP_1) | instskip(NEXT) | instid1(VALU_DEP_1)
	v_add_co_u32 v7, s0, v5, v7
	v_add_co_ci_u32_e64 v8, s0, v6, v8, s0
	s_waitcnt vmcnt(0)
	v_mul_f32_e32 v9, v11, v10
	global_store_b32 v[7:8], v9, off
	s_and_not1_b32 exec_lo, exec_lo, s5
	s_cbranch_execnz .LBB17_2
.LBB17_3:
	s_set_inst_prefetch_distance 0x2
	s_nop 0
	s_sendmsg sendmsg(MSG_DEALLOC_VGPRS)
	s_endpgm
	.section	.rodata,"a",@progbits
	.p2align	6, 0x0
	.amdhsa_kernel _ZL19rocblas_dgmm_kernelILi16ELi16ELb0EPKPKfPKPfEviiT2_lllS7_lllT3_llli
		.amdhsa_group_segment_fixed_size 0
		.amdhsa_private_segment_fixed_size 0
		.amdhsa_kernarg_size 368
		.amdhsa_user_sgpr_count 13
		.amdhsa_user_sgpr_dispatch_ptr 0
		.amdhsa_user_sgpr_queue_ptr 0
		.amdhsa_user_sgpr_kernarg_segment_ptr 1
		.amdhsa_user_sgpr_dispatch_id 0
		.amdhsa_user_sgpr_private_segment_size 0
		.amdhsa_wavefront_size32 1
		.amdhsa_uses_dynamic_stack 0
		.amdhsa_enable_private_segment 0
		.amdhsa_system_sgpr_workgroup_id_x 1
		.amdhsa_system_sgpr_workgroup_id_y 1
		.amdhsa_system_sgpr_workgroup_id_z 1
		.amdhsa_system_sgpr_workgroup_info 0
		.amdhsa_system_vgpr_workitem_id 1
		.amdhsa_next_free_vgpr 13
		.amdhsa_next_free_sgpr 20
		.amdhsa_reserve_vcc 1
		.amdhsa_float_round_mode_32 0
		.amdhsa_float_round_mode_16_64 0
		.amdhsa_float_denorm_mode_32 3
		.amdhsa_float_denorm_mode_16_64 3
		.amdhsa_dx10_clamp 1
		.amdhsa_ieee_mode 1
		.amdhsa_fp16_overflow 0
		.amdhsa_workgroup_processor_mode 1
		.amdhsa_memory_ordered 1
		.amdhsa_forward_progress 0
		.amdhsa_shared_vgpr_count 0
		.amdhsa_exception_fp_ieee_invalid_op 0
		.amdhsa_exception_fp_denorm_src 0
		.amdhsa_exception_fp_ieee_div_zero 0
		.amdhsa_exception_fp_ieee_overflow 0
		.amdhsa_exception_fp_ieee_underflow 0
		.amdhsa_exception_fp_ieee_inexact 0
		.amdhsa_exception_int_div_zero 0
	.end_amdhsa_kernel
	.section	.text._ZL19rocblas_dgmm_kernelILi16ELi16ELb0EPKPKfPKPfEviiT2_lllS7_lllT3_llli,"axG",@progbits,_ZL19rocblas_dgmm_kernelILi16ELi16ELb0EPKPKfPKPfEviiT2_lllS7_lllT3_llli,comdat
.Lfunc_end17:
	.size	_ZL19rocblas_dgmm_kernelILi16ELi16ELb0EPKPKfPKPfEviiT2_lllS7_lllT3_llli, .Lfunc_end17-_ZL19rocblas_dgmm_kernelILi16ELi16ELb0EPKPKfPKPfEviiT2_lllS7_lllT3_llli
                                        ; -- End function
	.section	.AMDGPU.csdata,"",@progbits
; Kernel info:
; codeLenInByte = 556
; NumSgprs: 22
; NumVgprs: 13
; ScratchSize: 0
; MemoryBound: 0
; FloatMode: 240
; IeeeMode: 1
; LDSByteSize: 0 bytes/workgroup (compile time only)
; SGPRBlocks: 2
; VGPRBlocks: 1
; NumSGPRsForWavesPerEU: 22
; NumVGPRsForWavesPerEU: 13
; Occupancy: 16
; WaveLimiterHint : 1
; COMPUTE_PGM_RSRC2:SCRATCH_EN: 0
; COMPUTE_PGM_RSRC2:USER_SGPR: 13
; COMPUTE_PGM_RSRC2:TRAP_HANDLER: 0
; COMPUTE_PGM_RSRC2:TGID_X_EN: 1
; COMPUTE_PGM_RSRC2:TGID_Y_EN: 1
; COMPUTE_PGM_RSRC2:TGID_Z_EN: 1
; COMPUTE_PGM_RSRC2:TIDIG_COMP_CNT: 1
	.section	.text._ZL26rocblas_dgmm_gfx942_kernelILi32ELi32ELb1EPKPKfPKPfEviiT2_lllS7_lllT3_lll,"axG",@progbits,_ZL26rocblas_dgmm_gfx942_kernelILi32ELi32ELb1EPKPKfPKPfEviiT2_lllS7_lllT3_lll,comdat
	.globl	_ZL26rocblas_dgmm_gfx942_kernelILi32ELi32ELb1EPKPKfPKPfEviiT2_lllS7_lllT3_lll ; -- Begin function _ZL26rocblas_dgmm_gfx942_kernelILi32ELi32ELb1EPKPKfPKPfEviiT2_lllS7_lllT3_lll
	.p2align	8
	.type	_ZL26rocblas_dgmm_gfx942_kernelILi32ELi32ELb1EPKPKfPKPfEviiT2_lllS7_lllT3_lll,@function
_ZL26rocblas_dgmm_gfx942_kernelILi32ELi32ELb1EPKPKfPKPfEviiT2_lllS7_lllT3_lll: ; @_ZL26rocblas_dgmm_gfx942_kernelILi32ELi32ELb1EPKPKfPKPfEviiT2_lllS7_lllT3_lll
; %bb.0:
	s_endpgm
	.section	.rodata,"a",@progbits
	.p2align	6, 0x0
	.amdhsa_kernel _ZL26rocblas_dgmm_gfx942_kernelILi32ELi32ELb1EPKPKfPKPfEviiT2_lllS7_lllT3_lll
		.amdhsa_group_segment_fixed_size 0
		.amdhsa_private_segment_fixed_size 0
		.amdhsa_kernarg_size 104
		.amdhsa_user_sgpr_count 15
		.amdhsa_user_sgpr_dispatch_ptr 0
		.amdhsa_user_sgpr_queue_ptr 0
		.amdhsa_user_sgpr_kernarg_segment_ptr 1
		.amdhsa_user_sgpr_dispatch_id 0
		.amdhsa_user_sgpr_private_segment_size 0
		.amdhsa_wavefront_size32 1
		.amdhsa_uses_dynamic_stack 0
		.amdhsa_enable_private_segment 0
		.amdhsa_system_sgpr_workgroup_id_x 1
		.amdhsa_system_sgpr_workgroup_id_y 0
		.amdhsa_system_sgpr_workgroup_id_z 0
		.amdhsa_system_sgpr_workgroup_info 0
		.amdhsa_system_vgpr_workitem_id 0
		.amdhsa_next_free_vgpr 1
		.amdhsa_next_free_sgpr 1
		.amdhsa_reserve_vcc 0
		.amdhsa_float_round_mode_32 0
		.amdhsa_float_round_mode_16_64 0
		.amdhsa_float_denorm_mode_32 3
		.amdhsa_float_denorm_mode_16_64 3
		.amdhsa_dx10_clamp 1
		.amdhsa_ieee_mode 1
		.amdhsa_fp16_overflow 0
		.amdhsa_workgroup_processor_mode 1
		.amdhsa_memory_ordered 1
		.amdhsa_forward_progress 0
		.amdhsa_shared_vgpr_count 0
		.amdhsa_exception_fp_ieee_invalid_op 0
		.amdhsa_exception_fp_denorm_src 0
		.amdhsa_exception_fp_ieee_div_zero 0
		.amdhsa_exception_fp_ieee_overflow 0
		.amdhsa_exception_fp_ieee_underflow 0
		.amdhsa_exception_fp_ieee_inexact 0
		.amdhsa_exception_int_div_zero 0
	.end_amdhsa_kernel
	.section	.text._ZL26rocblas_dgmm_gfx942_kernelILi32ELi32ELb1EPKPKfPKPfEviiT2_lllS7_lllT3_lll,"axG",@progbits,_ZL26rocblas_dgmm_gfx942_kernelILi32ELi32ELb1EPKPKfPKPfEviiT2_lllS7_lllT3_lll,comdat
.Lfunc_end18:
	.size	_ZL26rocblas_dgmm_gfx942_kernelILi32ELi32ELb1EPKPKfPKPfEviiT2_lllS7_lllT3_lll, .Lfunc_end18-_ZL26rocblas_dgmm_gfx942_kernelILi32ELi32ELb1EPKPKfPKPfEviiT2_lllS7_lllT3_lll
                                        ; -- End function
	.section	.AMDGPU.csdata,"",@progbits
; Kernel info:
; codeLenInByte = 4
; NumSgprs: 0
; NumVgprs: 0
; ScratchSize: 0
; MemoryBound: 0
; FloatMode: 240
; IeeeMode: 1
; LDSByteSize: 0 bytes/workgroup (compile time only)
; SGPRBlocks: 0
; VGPRBlocks: 0
; NumSGPRsForWavesPerEU: 1
; NumVGPRsForWavesPerEU: 1
; Occupancy: 16
; WaveLimiterHint : 0
; COMPUTE_PGM_RSRC2:SCRATCH_EN: 0
; COMPUTE_PGM_RSRC2:USER_SGPR: 15
; COMPUTE_PGM_RSRC2:TRAP_HANDLER: 0
; COMPUTE_PGM_RSRC2:TGID_X_EN: 1
; COMPUTE_PGM_RSRC2:TGID_Y_EN: 0
; COMPUTE_PGM_RSRC2:TGID_Z_EN: 0
; COMPUTE_PGM_RSRC2:TIDIG_COMP_CNT: 0
	.section	.text._ZL19rocblas_dgmm_kernelILi16ELi16ELb1EPKPKfPKPfEviiT2_lllS7_lllT3_llli,"axG",@progbits,_ZL19rocblas_dgmm_kernelILi16ELi16ELb1EPKPKfPKPfEviiT2_lllS7_lllT3_llli,comdat
	.globl	_ZL19rocblas_dgmm_kernelILi16ELi16ELb1EPKPKfPKPfEviiT2_lllS7_lllT3_llli ; -- Begin function _ZL19rocblas_dgmm_kernelILi16ELi16ELb1EPKPKfPKPfEviiT2_lllS7_lllT3_llli
	.p2align	8
	.type	_ZL19rocblas_dgmm_kernelILi16ELi16ELb1EPKPKfPKPfEviiT2_lllS7_lllT3_llli,@function
_ZL19rocblas_dgmm_kernelILi16ELi16ELb1EPKPKfPKPfEviiT2_lllS7_lllT3_llli: ; @_ZL19rocblas_dgmm_kernelILi16ELi16ELb1EPKPKfPKPfEviiT2_lllS7_lllT3_llli
; %bb.0:
	s_load_b64 s[2:3], s[0:1], 0x0
	v_and_b32_e32 v1, 0x3ff, v0
	v_bfe_u32 v2, v0, 10, 10
	s_delay_alu instid0(VALU_DEP_2) | instskip(NEXT) | instid1(VALU_DEP_2)
	v_lshl_add_u32 v0, s13, 4, v1
	v_lshl_add_u32 v2, s14, 4, v2
	s_waitcnt lgkmcnt(0)
	s_delay_alu instid0(VALU_DEP_2) | instskip(NEXT) | instid1(VALU_DEP_2)
	v_cmp_gt_i32_e32 vcc_lo, s2, v0
	v_cmp_gt_i32_e64 s2, s3, v2
	s_delay_alu instid0(VALU_DEP_1) | instskip(NEXT) | instid1(SALU_CYCLE_1)
	s_and_b32 s2, vcc_lo, s2
	s_and_saveexec_b32 s5, s2
	s_cbranch_execz .LBB19_3
; %bb.1:
	s_clause 0x1
	s_load_b128 s[8:11], s[0:1], 0x8
	s_load_b64 s[6:7], s[0:1], 0x18
	s_mov_b32 s4, s15
	s_mov_b32 s5, 0
	v_ashrrev_i32_e32 v1, 31, v0
	s_lshl_b64 s[20:21], s[4:5], 3
	s_delay_alu instid0(VALU_DEP_1)
	v_lshlrev_b64 v[3:4], 2, v[0:1]
	s_waitcnt lgkmcnt(0)
	s_add_u32 s8, s8, s20
	s_addc_u32 s9, s9, s21
	s_lshl_b64 s[10:11], s[10:11], 2
	s_load_b64 s[16:17], s[8:9], 0x0
	s_clause 0x1
	s_load_b128 s[12:15], s[0:1], 0x28
	s_load_b64 s[8:9], s[0:1], 0x38
	s_waitcnt lgkmcnt(0)
	s_add_u32 s22, s16, s10
	s_addc_u32 s23, s17, s11
	s_add_u32 s10, s12, s20
	s_addc_u32 s11, s13, s21
	s_lshl_b64 s[12:13], s[14:15], 2
	s_load_b64 s[10:11], s[10:11], 0x0
	s_load_b128 s[16:19], s[0:1], 0x48
	v_add_co_u32 v0, vcc_lo, s22, v3
	v_add_co_ci_u32_e32 v1, vcc_lo, s23, v4, vcc_lo
	s_waitcnt lgkmcnt(0)
	s_add_u32 s2, s10, s12
	s_addc_u32 s4, s11, s13
	s_add_u32 s10, s16, s20
	s_addc_u32 s11, s17, s21
	s_load_b64 s[12:13], s[10:11], 0x0
	s_clause 0x1
	s_load_b32 s14, s[0:1], 0x74
	s_load_b64 s[10:11], s[0:1], 0x58
	s_lshl_b64 s[0:1], s[18:19], 2
	s_waitcnt lgkmcnt(0)
	s_add_u32 s0, s12, s0
	s_addc_u32 s1, s13, s1
	v_add_co_u32 v3, vcc_lo, s0, v3
	v_add_co_ci_u32_e32 v4, vcc_lo, s1, v4, vcc_lo
	s_lshl_b32 s1, s14, 4
.LBB19_2:                               ; =>This Inner Loop Header: Depth=1
	v_ashrrev_i32_e32 v9, 31, v2
	v_mul_lo_u32 v10, v2, s7
	v_mad_u64_u32 v[5:6], null, v2, s6, 0
	v_mul_lo_u32 v11, v2, s9
	s_delay_alu instid0(VALU_DEP_4) | instskip(SKIP_3) | instid1(VALU_DEP_4)
	v_mul_lo_u32 v12, v9, s6
	v_mad_u64_u32 v[7:8], null, v2, s8, 0
	v_mul_lo_u32 v13, v9, s8
	v_mul_lo_u32 v9, v9, s10
	v_add3_u32 v6, v6, v10, v12
	s_delay_alu instid0(VALU_DEP_3) | instskip(NEXT) | instid1(VALU_DEP_2)
	v_add3_u32 v8, v8, v11, v13
	v_lshlrev_b64 v[5:6], 2, v[5:6]
	s_delay_alu instid0(VALU_DEP_2) | instskip(NEXT) | instid1(VALU_DEP_2)
	v_lshlrev_b64 v[7:8], 2, v[7:8]
	v_add_co_u32 v5, vcc_lo, v0, v5
	s_delay_alu instid0(VALU_DEP_3) | instskip(NEXT) | instid1(VALU_DEP_3)
	v_add_co_ci_u32_e32 v6, vcc_lo, v1, v6, vcc_lo
	v_add_co_u32 v7, vcc_lo, s2, v7
	s_delay_alu instid0(VALU_DEP_4)
	v_add_co_ci_u32_e32 v8, vcc_lo, s4, v8, vcc_lo
	global_load_b32 v10, v[5:6], off
	global_load_b32 v7, v[7:8], off
	v_mul_lo_u32 v8, v2, s11
	v_mad_u64_u32 v[5:6], null, v2, s10, 0
	v_add_nc_u32_e32 v2, s1, v2
	s_delay_alu instid0(VALU_DEP_2) | instskip(NEXT) | instid1(VALU_DEP_1)
	v_add3_u32 v6, v6, v8, v9
	v_lshlrev_b64 v[5:6], 2, v[5:6]
	s_delay_alu instid0(VALU_DEP_1) | instskip(NEXT) | instid1(VALU_DEP_1)
	v_add_co_u32 v5, s0, v3, v5
	v_add_co_ci_u32_e64 v6, s0, v4, v6, s0
	s_waitcnt vmcnt(0)
	v_mul_f32_e32 v7, v10, v7
	v_cmp_le_i32_e32 vcc_lo, s3, v2
	global_store_b32 v[5:6], v7, off
	s_or_b32 s5, vcc_lo, s5
	s_delay_alu instid0(SALU_CYCLE_1)
	s_and_not1_b32 exec_lo, exec_lo, s5
	s_cbranch_execnz .LBB19_2
.LBB19_3:
	s_nop 0
	s_sendmsg sendmsg(MSG_DEALLOC_VGPRS)
	s_endpgm
	.section	.rodata,"a",@progbits
	.p2align	6, 0x0
	.amdhsa_kernel _ZL19rocblas_dgmm_kernelILi16ELi16ELb1EPKPKfPKPfEviiT2_lllS7_lllT3_llli
		.amdhsa_group_segment_fixed_size 0
		.amdhsa_private_segment_fixed_size 0
		.amdhsa_kernarg_size 368
		.amdhsa_user_sgpr_count 13
		.amdhsa_user_sgpr_dispatch_ptr 0
		.amdhsa_user_sgpr_queue_ptr 0
		.amdhsa_user_sgpr_kernarg_segment_ptr 1
		.amdhsa_user_sgpr_dispatch_id 0
		.amdhsa_user_sgpr_private_segment_size 0
		.amdhsa_wavefront_size32 1
		.amdhsa_uses_dynamic_stack 0
		.amdhsa_enable_private_segment 0
		.amdhsa_system_sgpr_workgroup_id_x 1
		.amdhsa_system_sgpr_workgroup_id_y 1
		.amdhsa_system_sgpr_workgroup_id_z 1
		.amdhsa_system_sgpr_workgroup_info 0
		.amdhsa_system_vgpr_workitem_id 1
		.amdhsa_next_free_vgpr 14
		.amdhsa_next_free_sgpr 24
		.amdhsa_reserve_vcc 1
		.amdhsa_float_round_mode_32 0
		.amdhsa_float_round_mode_16_64 0
		.amdhsa_float_denorm_mode_32 3
		.amdhsa_float_denorm_mode_16_64 3
		.amdhsa_dx10_clamp 1
		.amdhsa_ieee_mode 1
		.amdhsa_fp16_overflow 0
		.amdhsa_workgroup_processor_mode 1
		.amdhsa_memory_ordered 1
		.amdhsa_forward_progress 0
		.amdhsa_shared_vgpr_count 0
		.amdhsa_exception_fp_ieee_invalid_op 0
		.amdhsa_exception_fp_denorm_src 0
		.amdhsa_exception_fp_ieee_div_zero 0
		.amdhsa_exception_fp_ieee_overflow 0
		.amdhsa_exception_fp_ieee_underflow 0
		.amdhsa_exception_fp_ieee_inexact 0
		.amdhsa_exception_int_div_zero 0
	.end_amdhsa_kernel
	.section	.text._ZL19rocblas_dgmm_kernelILi16ELi16ELb1EPKPKfPKPfEviiT2_lllS7_lllT3_llli,"axG",@progbits,_ZL19rocblas_dgmm_kernelILi16ELi16ELb1EPKPKfPKPfEviiT2_lllS7_lllT3_llli,comdat
.Lfunc_end19:
	.size	_ZL19rocblas_dgmm_kernelILi16ELi16ELb1EPKPKfPKPfEviiT2_lllS7_lllT3_llli, .Lfunc_end19-_ZL19rocblas_dgmm_kernelILi16ELi16ELb1EPKPKfPKPfEviiT2_lllS7_lllT3_llli
                                        ; -- End function
	.section	.AMDGPU.csdata,"",@progbits
; Kernel info:
; codeLenInByte = 564
; NumSgprs: 26
; NumVgprs: 14
; ScratchSize: 0
; MemoryBound: 0
; FloatMode: 240
; IeeeMode: 1
; LDSByteSize: 0 bytes/workgroup (compile time only)
; SGPRBlocks: 3
; VGPRBlocks: 1
; NumSGPRsForWavesPerEU: 26
; NumVGPRsForWavesPerEU: 14
; Occupancy: 16
; WaveLimiterHint : 1
; COMPUTE_PGM_RSRC2:SCRATCH_EN: 0
; COMPUTE_PGM_RSRC2:USER_SGPR: 13
; COMPUTE_PGM_RSRC2:TRAP_HANDLER: 0
; COMPUTE_PGM_RSRC2:TGID_X_EN: 1
; COMPUTE_PGM_RSRC2:TGID_Y_EN: 1
; COMPUTE_PGM_RSRC2:TGID_Z_EN: 1
; COMPUTE_PGM_RSRC2:TIDIG_COMP_CNT: 1
	.section	.text._ZL26rocblas_dgmm_gfx942_kernelILi32ELi32ELb0EPKPKdPKPdEviiT2_lllS7_lllT3_lll,"axG",@progbits,_ZL26rocblas_dgmm_gfx942_kernelILi32ELi32ELb0EPKPKdPKPdEviiT2_lllS7_lllT3_lll,comdat
	.globl	_ZL26rocblas_dgmm_gfx942_kernelILi32ELi32ELb0EPKPKdPKPdEviiT2_lllS7_lllT3_lll ; -- Begin function _ZL26rocblas_dgmm_gfx942_kernelILi32ELi32ELb0EPKPKdPKPdEviiT2_lllS7_lllT3_lll
	.p2align	8
	.type	_ZL26rocblas_dgmm_gfx942_kernelILi32ELi32ELb0EPKPKdPKPdEviiT2_lllS7_lllT3_lll,@function
_ZL26rocblas_dgmm_gfx942_kernelILi32ELi32ELb0EPKPKdPKPdEviiT2_lllS7_lllT3_lll: ; @_ZL26rocblas_dgmm_gfx942_kernelILi32ELi32ELb0EPKPKdPKPdEviiT2_lllS7_lllT3_lll
; %bb.0:
	s_endpgm
	.section	.rodata,"a",@progbits
	.p2align	6, 0x0
	.amdhsa_kernel _ZL26rocblas_dgmm_gfx942_kernelILi32ELi32ELb0EPKPKdPKPdEviiT2_lllS7_lllT3_lll
		.amdhsa_group_segment_fixed_size 0
		.amdhsa_private_segment_fixed_size 0
		.amdhsa_kernarg_size 104
		.amdhsa_user_sgpr_count 15
		.amdhsa_user_sgpr_dispatch_ptr 0
		.amdhsa_user_sgpr_queue_ptr 0
		.amdhsa_user_sgpr_kernarg_segment_ptr 1
		.amdhsa_user_sgpr_dispatch_id 0
		.amdhsa_user_sgpr_private_segment_size 0
		.amdhsa_wavefront_size32 1
		.amdhsa_uses_dynamic_stack 0
		.amdhsa_enable_private_segment 0
		.amdhsa_system_sgpr_workgroup_id_x 1
		.amdhsa_system_sgpr_workgroup_id_y 0
		.amdhsa_system_sgpr_workgroup_id_z 0
		.amdhsa_system_sgpr_workgroup_info 0
		.amdhsa_system_vgpr_workitem_id 0
		.amdhsa_next_free_vgpr 1
		.amdhsa_next_free_sgpr 1
		.amdhsa_reserve_vcc 0
		.amdhsa_float_round_mode_32 0
		.amdhsa_float_round_mode_16_64 0
		.amdhsa_float_denorm_mode_32 3
		.amdhsa_float_denorm_mode_16_64 3
		.amdhsa_dx10_clamp 1
		.amdhsa_ieee_mode 1
		.amdhsa_fp16_overflow 0
		.amdhsa_workgroup_processor_mode 1
		.amdhsa_memory_ordered 1
		.amdhsa_forward_progress 0
		.amdhsa_shared_vgpr_count 0
		.amdhsa_exception_fp_ieee_invalid_op 0
		.amdhsa_exception_fp_denorm_src 0
		.amdhsa_exception_fp_ieee_div_zero 0
		.amdhsa_exception_fp_ieee_overflow 0
		.amdhsa_exception_fp_ieee_underflow 0
		.amdhsa_exception_fp_ieee_inexact 0
		.amdhsa_exception_int_div_zero 0
	.end_amdhsa_kernel
	.section	.text._ZL26rocblas_dgmm_gfx942_kernelILi32ELi32ELb0EPKPKdPKPdEviiT2_lllS7_lllT3_lll,"axG",@progbits,_ZL26rocblas_dgmm_gfx942_kernelILi32ELi32ELb0EPKPKdPKPdEviiT2_lllS7_lllT3_lll,comdat
.Lfunc_end20:
	.size	_ZL26rocblas_dgmm_gfx942_kernelILi32ELi32ELb0EPKPKdPKPdEviiT2_lllS7_lllT3_lll, .Lfunc_end20-_ZL26rocblas_dgmm_gfx942_kernelILi32ELi32ELb0EPKPKdPKPdEviiT2_lllS7_lllT3_lll
                                        ; -- End function
	.section	.AMDGPU.csdata,"",@progbits
; Kernel info:
; codeLenInByte = 4
; NumSgprs: 0
; NumVgprs: 0
; ScratchSize: 0
; MemoryBound: 0
; FloatMode: 240
; IeeeMode: 1
; LDSByteSize: 0 bytes/workgroup (compile time only)
; SGPRBlocks: 0
; VGPRBlocks: 0
; NumSGPRsForWavesPerEU: 1
; NumVGPRsForWavesPerEU: 1
; Occupancy: 16
; WaveLimiterHint : 0
; COMPUTE_PGM_RSRC2:SCRATCH_EN: 0
; COMPUTE_PGM_RSRC2:USER_SGPR: 15
; COMPUTE_PGM_RSRC2:TRAP_HANDLER: 0
; COMPUTE_PGM_RSRC2:TGID_X_EN: 1
; COMPUTE_PGM_RSRC2:TGID_Y_EN: 0
; COMPUTE_PGM_RSRC2:TGID_Z_EN: 0
; COMPUTE_PGM_RSRC2:TIDIG_COMP_CNT: 0
	.section	.text._ZL19rocblas_dgmm_kernelILi16ELi16ELb0EPKPKdPKPdEviiT2_lllS7_lllT3_llli,"axG",@progbits,_ZL19rocblas_dgmm_kernelILi16ELi16ELb0EPKPKdPKPdEviiT2_lllS7_lllT3_llli,comdat
	.globl	_ZL19rocblas_dgmm_kernelILi16ELi16ELb0EPKPKdPKPdEviiT2_lllS7_lllT3_llli ; -- Begin function _ZL19rocblas_dgmm_kernelILi16ELi16ELb0EPKPKdPKPdEviiT2_lllS7_lllT3_llli
	.p2align	8
	.type	_ZL19rocblas_dgmm_kernelILi16ELi16ELb0EPKPKdPKPdEviiT2_lllS7_lllT3_llli,@function
_ZL19rocblas_dgmm_kernelILi16ELi16ELb0EPKPKdPKPdEviiT2_lllS7_lllT3_llli: ; @_ZL19rocblas_dgmm_kernelILi16ELi16ELb0EPKPKdPKPdEviiT2_lllS7_lllT3_llli
; %bb.0:
	s_load_b64 s[2:3], s[0:1], 0x0
	v_and_b32_e32 v1, 0x3ff, v0
	v_bfe_u32 v2, v0, 10, 10
	s_delay_alu instid0(VALU_DEP_2) | instskip(NEXT) | instid1(VALU_DEP_2)
	v_lshl_add_u32 v0, s13, 4, v1
	v_lshl_add_u32 v2, s14, 4, v2
	s_waitcnt lgkmcnt(0)
	s_delay_alu instid0(VALU_DEP_2) | instskip(NEXT) | instid1(VALU_DEP_2)
	v_cmp_gt_i32_e32 vcc_lo, s2, v0
	v_cmp_gt_i32_e64 s2, s3, v2
	s_delay_alu instid0(VALU_DEP_1) | instskip(NEXT) | instid1(SALU_CYCLE_1)
	s_and_b32 s2, vcc_lo, s2
	s_and_saveexec_b32 s5, s2
	s_cbranch_execz .LBB21_3
; %bb.1:
	s_clause 0x1
	s_load_b128 s[8:11], s[0:1], 0x8
	s_load_b64 s[6:7], s[0:1], 0x18
	s_mov_b32 s4, s15
	s_mov_b32 s5, 0
	s_load_b64 s[18:19], s[0:1], 0x38
	s_lshl_b64 s[16:17], s[4:5], 3
	v_ashrrev_i32_e32 v1, 31, v0
	s_waitcnt lgkmcnt(0)
	s_add_u32 s8, s8, s16
	s_addc_u32 s9, s9, s17
	s_lshl_b64 s[10:11], s[10:11], 3
	s_load_b64 s[8:9], s[8:9], 0x0
	s_load_b128 s[12:15], s[0:1], 0x28
	v_mul_lo_u32 v5, v0, s19
	v_mul_lo_u32 v6, v1, s18
	v_mad_u64_u32 v[3:4], null, v0, s18, 0
	s_delay_alu instid0(VALU_DEP_1) | instskip(SKIP_1) | instid1(VALU_DEP_2)
	v_add3_u32 v4, v4, v5, v6
	v_lshlrev_b64 v[5:6], 3, v[0:1]
	v_lshlrev_b64 v[0:1], 3, v[3:4]
	s_waitcnt lgkmcnt(0)
	s_add_u32 s2, s8, s10
	s_addc_u32 s4, s9, s11
	s_add_u32 s8, s12, s16
	s_addc_u32 s9, s13, s17
	s_lshl_b64 s[14:15], s[14:15], 3
	s_load_b64 s[12:13], s[8:9], 0x0
	s_load_b128 s[8:11], s[0:1], 0x48
	v_add_co_u32 v3, vcc_lo, s2, v5
	v_add_co_ci_u32_e32 v4, vcc_lo, s4, v6, vcc_lo
	s_waitcnt lgkmcnt(0)
	s_add_u32 s14, s12, s14
	s_addc_u32 s15, s13, s15
	s_add_u32 s8, s8, s16
	s_addc_u32 s9, s9, s17
	v_add_co_u32 v0, vcc_lo, s14, v0
	s_load_b64 s[12:13], s[8:9], 0x0
	s_clause 0x1
	s_load_b32 s16, s[0:1], 0x74
	s_load_b64 s[8:9], s[0:1], 0x58
	s_lshl_b64 s[0:1], s[10:11], 3
	v_add_co_ci_u32_e32 v1, vcc_lo, s15, v1, vcc_lo
	s_waitcnt lgkmcnt(0)
	s_add_u32 s0, s12, s0
	s_addc_u32 s1, s13, s1
	v_add_co_u32 v5, vcc_lo, s0, v5
	v_add_co_ci_u32_e32 v6, vcc_lo, s1, v6, vcc_lo
	s_lshl_b32 s1, s16, 4
	s_set_inst_prefetch_distance 0x1
	.p2align	6
.LBB21_2:                               ; =>This Inner Loop Header: Depth=1
	v_ashrrev_i32_e32 v11, 31, v2
	v_mul_lo_u32 v9, v2, s7
	v_mad_u64_u32 v[7:8], null, v2, s6, 0
	v_mul_lo_u32 v12, v2, s9
	s_delay_alu instid0(VALU_DEP_4) | instskip(SKIP_1) | instid1(VALU_DEP_2)
	v_mul_lo_u32 v10, v11, s6
	v_mul_lo_u32 v11, v11, s8
	v_add3_u32 v8, v8, v9, v10
	s_delay_alu instid0(VALU_DEP_1) | instskip(NEXT) | instid1(VALU_DEP_1)
	v_lshlrev_b64 v[7:8], 3, v[7:8]
	v_add_co_u32 v7, vcc_lo, v3, v7
	s_delay_alu instid0(VALU_DEP_2)
	v_add_co_ci_u32_e32 v8, vcc_lo, v4, v8, vcc_lo
	global_load_b64 v[9:10], v[0:1], off
	global_load_b64 v[7:8], v[7:8], off
	s_waitcnt vmcnt(0)
	v_mul_f64 v[7:8], v[7:8], v[9:10]
	v_mad_u64_u32 v[9:10], null, v2, s8, 0
	v_add_nc_u32_e32 v2, s1, v2
	s_delay_alu instid0(VALU_DEP_1) | instskip(NEXT) | instid1(VALU_DEP_3)
	v_cmp_le_i32_e32 vcc_lo, s3, v2
	v_add3_u32 v10, v10, v12, v11
	s_or_b32 s5, vcc_lo, s5
	s_delay_alu instid0(VALU_DEP_1) | instskip(NEXT) | instid1(VALU_DEP_1)
	v_lshlrev_b64 v[9:10], 3, v[9:10]
	v_add_co_u32 v9, s0, v5, v9
	s_delay_alu instid0(VALU_DEP_1)
	v_add_co_ci_u32_e64 v10, s0, v6, v10, s0
	global_store_b64 v[9:10], v[7:8], off
	s_and_not1_b32 exec_lo, exec_lo, s5
	s_cbranch_execnz .LBB21_2
.LBB21_3:
	s_set_inst_prefetch_distance 0x2
	s_nop 0
	s_sendmsg sendmsg(MSG_DEALLOC_VGPRS)
	s_endpgm
	.section	.rodata,"a",@progbits
	.p2align	6, 0x0
	.amdhsa_kernel _ZL19rocblas_dgmm_kernelILi16ELi16ELb0EPKPKdPKPdEviiT2_lllS7_lllT3_llli
		.amdhsa_group_segment_fixed_size 0
		.amdhsa_private_segment_fixed_size 0
		.amdhsa_kernarg_size 368
		.amdhsa_user_sgpr_count 13
		.amdhsa_user_sgpr_dispatch_ptr 0
		.amdhsa_user_sgpr_queue_ptr 0
		.amdhsa_user_sgpr_kernarg_segment_ptr 1
		.amdhsa_user_sgpr_dispatch_id 0
		.amdhsa_user_sgpr_private_segment_size 0
		.amdhsa_wavefront_size32 1
		.amdhsa_uses_dynamic_stack 0
		.amdhsa_enable_private_segment 0
		.amdhsa_system_sgpr_workgroup_id_x 1
		.amdhsa_system_sgpr_workgroup_id_y 1
		.amdhsa_system_sgpr_workgroup_id_z 1
		.amdhsa_system_sgpr_workgroup_info 0
		.amdhsa_system_vgpr_workitem_id 1
		.amdhsa_next_free_vgpr 13
		.amdhsa_next_free_sgpr 20
		.amdhsa_reserve_vcc 1
		.amdhsa_float_round_mode_32 0
		.amdhsa_float_round_mode_16_64 0
		.amdhsa_float_denorm_mode_32 3
		.amdhsa_float_denorm_mode_16_64 3
		.amdhsa_dx10_clamp 1
		.amdhsa_ieee_mode 1
		.amdhsa_fp16_overflow 0
		.amdhsa_workgroup_processor_mode 1
		.amdhsa_memory_ordered 1
		.amdhsa_forward_progress 0
		.amdhsa_shared_vgpr_count 0
		.amdhsa_exception_fp_ieee_invalid_op 0
		.amdhsa_exception_fp_denorm_src 0
		.amdhsa_exception_fp_ieee_div_zero 0
		.amdhsa_exception_fp_ieee_overflow 0
		.amdhsa_exception_fp_ieee_underflow 0
		.amdhsa_exception_fp_ieee_inexact 0
		.amdhsa_exception_int_div_zero 0
	.end_amdhsa_kernel
	.section	.text._ZL19rocblas_dgmm_kernelILi16ELi16ELb0EPKPKdPKPdEviiT2_lllS7_lllT3_llli,"axG",@progbits,_ZL19rocblas_dgmm_kernelILi16ELi16ELb0EPKPKdPKPdEviiT2_lllS7_lllT3_llli,comdat
.Lfunc_end21:
	.size	_ZL19rocblas_dgmm_kernelILi16ELi16ELb0EPKPKdPKPdEviiT2_lllS7_lllT3_llli, .Lfunc_end21-_ZL19rocblas_dgmm_kernelILi16ELi16ELb0EPKPKdPKPdEviiT2_lllS7_lllT3_llli
                                        ; -- End function
	.section	.AMDGPU.csdata,"",@progbits
; Kernel info:
; codeLenInByte = 564
; NumSgprs: 22
; NumVgprs: 13
; ScratchSize: 0
; MemoryBound: 0
; FloatMode: 240
; IeeeMode: 1
; LDSByteSize: 0 bytes/workgroup (compile time only)
; SGPRBlocks: 2
; VGPRBlocks: 1
; NumSGPRsForWavesPerEU: 22
; NumVGPRsForWavesPerEU: 13
; Occupancy: 16
; WaveLimiterHint : 1
; COMPUTE_PGM_RSRC2:SCRATCH_EN: 0
; COMPUTE_PGM_RSRC2:USER_SGPR: 13
; COMPUTE_PGM_RSRC2:TRAP_HANDLER: 0
; COMPUTE_PGM_RSRC2:TGID_X_EN: 1
; COMPUTE_PGM_RSRC2:TGID_Y_EN: 1
; COMPUTE_PGM_RSRC2:TGID_Z_EN: 1
; COMPUTE_PGM_RSRC2:TIDIG_COMP_CNT: 1
	.section	.text._ZL26rocblas_dgmm_gfx942_kernelILi32ELi32ELb1EPKPKdPKPdEviiT2_lllS7_lllT3_lll,"axG",@progbits,_ZL26rocblas_dgmm_gfx942_kernelILi32ELi32ELb1EPKPKdPKPdEviiT2_lllS7_lllT3_lll,comdat
	.globl	_ZL26rocblas_dgmm_gfx942_kernelILi32ELi32ELb1EPKPKdPKPdEviiT2_lllS7_lllT3_lll ; -- Begin function _ZL26rocblas_dgmm_gfx942_kernelILi32ELi32ELb1EPKPKdPKPdEviiT2_lllS7_lllT3_lll
	.p2align	8
	.type	_ZL26rocblas_dgmm_gfx942_kernelILi32ELi32ELb1EPKPKdPKPdEviiT2_lllS7_lllT3_lll,@function
_ZL26rocblas_dgmm_gfx942_kernelILi32ELi32ELb1EPKPKdPKPdEviiT2_lllS7_lllT3_lll: ; @_ZL26rocblas_dgmm_gfx942_kernelILi32ELi32ELb1EPKPKdPKPdEviiT2_lllS7_lllT3_lll
; %bb.0:
	s_endpgm
	.section	.rodata,"a",@progbits
	.p2align	6, 0x0
	.amdhsa_kernel _ZL26rocblas_dgmm_gfx942_kernelILi32ELi32ELb1EPKPKdPKPdEviiT2_lllS7_lllT3_lll
		.amdhsa_group_segment_fixed_size 0
		.amdhsa_private_segment_fixed_size 0
		.amdhsa_kernarg_size 104
		.amdhsa_user_sgpr_count 15
		.amdhsa_user_sgpr_dispatch_ptr 0
		.amdhsa_user_sgpr_queue_ptr 0
		.amdhsa_user_sgpr_kernarg_segment_ptr 1
		.amdhsa_user_sgpr_dispatch_id 0
		.amdhsa_user_sgpr_private_segment_size 0
		.amdhsa_wavefront_size32 1
		.amdhsa_uses_dynamic_stack 0
		.amdhsa_enable_private_segment 0
		.amdhsa_system_sgpr_workgroup_id_x 1
		.amdhsa_system_sgpr_workgroup_id_y 0
		.amdhsa_system_sgpr_workgroup_id_z 0
		.amdhsa_system_sgpr_workgroup_info 0
		.amdhsa_system_vgpr_workitem_id 0
		.amdhsa_next_free_vgpr 1
		.amdhsa_next_free_sgpr 1
		.amdhsa_reserve_vcc 0
		.amdhsa_float_round_mode_32 0
		.amdhsa_float_round_mode_16_64 0
		.amdhsa_float_denorm_mode_32 3
		.amdhsa_float_denorm_mode_16_64 3
		.amdhsa_dx10_clamp 1
		.amdhsa_ieee_mode 1
		.amdhsa_fp16_overflow 0
		.amdhsa_workgroup_processor_mode 1
		.amdhsa_memory_ordered 1
		.amdhsa_forward_progress 0
		.amdhsa_shared_vgpr_count 0
		.amdhsa_exception_fp_ieee_invalid_op 0
		.amdhsa_exception_fp_denorm_src 0
		.amdhsa_exception_fp_ieee_div_zero 0
		.amdhsa_exception_fp_ieee_overflow 0
		.amdhsa_exception_fp_ieee_underflow 0
		.amdhsa_exception_fp_ieee_inexact 0
		.amdhsa_exception_int_div_zero 0
	.end_amdhsa_kernel
	.section	.text._ZL26rocblas_dgmm_gfx942_kernelILi32ELi32ELb1EPKPKdPKPdEviiT2_lllS7_lllT3_lll,"axG",@progbits,_ZL26rocblas_dgmm_gfx942_kernelILi32ELi32ELb1EPKPKdPKPdEviiT2_lllS7_lllT3_lll,comdat
.Lfunc_end22:
	.size	_ZL26rocblas_dgmm_gfx942_kernelILi32ELi32ELb1EPKPKdPKPdEviiT2_lllS7_lllT3_lll, .Lfunc_end22-_ZL26rocblas_dgmm_gfx942_kernelILi32ELi32ELb1EPKPKdPKPdEviiT2_lllS7_lllT3_lll
                                        ; -- End function
	.section	.AMDGPU.csdata,"",@progbits
; Kernel info:
; codeLenInByte = 4
; NumSgprs: 0
; NumVgprs: 0
; ScratchSize: 0
; MemoryBound: 0
; FloatMode: 240
; IeeeMode: 1
; LDSByteSize: 0 bytes/workgroup (compile time only)
; SGPRBlocks: 0
; VGPRBlocks: 0
; NumSGPRsForWavesPerEU: 1
; NumVGPRsForWavesPerEU: 1
; Occupancy: 16
; WaveLimiterHint : 0
; COMPUTE_PGM_RSRC2:SCRATCH_EN: 0
; COMPUTE_PGM_RSRC2:USER_SGPR: 15
; COMPUTE_PGM_RSRC2:TRAP_HANDLER: 0
; COMPUTE_PGM_RSRC2:TGID_X_EN: 1
; COMPUTE_PGM_RSRC2:TGID_Y_EN: 0
; COMPUTE_PGM_RSRC2:TGID_Z_EN: 0
; COMPUTE_PGM_RSRC2:TIDIG_COMP_CNT: 0
	.section	.text._ZL19rocblas_dgmm_kernelILi16ELi16ELb1EPKPKdPKPdEviiT2_lllS7_lllT3_llli,"axG",@progbits,_ZL19rocblas_dgmm_kernelILi16ELi16ELb1EPKPKdPKPdEviiT2_lllS7_lllT3_llli,comdat
	.globl	_ZL19rocblas_dgmm_kernelILi16ELi16ELb1EPKPKdPKPdEviiT2_lllS7_lllT3_llli ; -- Begin function _ZL19rocblas_dgmm_kernelILi16ELi16ELb1EPKPKdPKPdEviiT2_lllS7_lllT3_llli
	.p2align	8
	.type	_ZL19rocblas_dgmm_kernelILi16ELi16ELb1EPKPKdPKPdEviiT2_lllS7_lllT3_llli,@function
_ZL19rocblas_dgmm_kernelILi16ELi16ELb1EPKPKdPKPdEviiT2_lllS7_lllT3_llli: ; @_ZL19rocblas_dgmm_kernelILi16ELi16ELb1EPKPKdPKPdEviiT2_lllS7_lllT3_llli
; %bb.0:
	s_load_b64 s[2:3], s[0:1], 0x0
	v_and_b32_e32 v1, 0x3ff, v0
	v_bfe_u32 v2, v0, 10, 10
	s_delay_alu instid0(VALU_DEP_2) | instskip(NEXT) | instid1(VALU_DEP_2)
	v_lshl_add_u32 v0, s13, 4, v1
	v_lshl_add_u32 v2, s14, 4, v2
	s_waitcnt lgkmcnt(0)
	s_delay_alu instid0(VALU_DEP_2) | instskip(NEXT) | instid1(VALU_DEP_2)
	v_cmp_gt_i32_e32 vcc_lo, s2, v0
	v_cmp_gt_i32_e64 s2, s3, v2
	s_delay_alu instid0(VALU_DEP_1) | instskip(NEXT) | instid1(SALU_CYCLE_1)
	s_and_b32 s2, vcc_lo, s2
	s_and_saveexec_b32 s5, s2
	s_cbranch_execz .LBB23_3
; %bb.1:
	s_clause 0x1
	s_load_b128 s[8:11], s[0:1], 0x8
	s_load_b64 s[6:7], s[0:1], 0x18
	s_mov_b32 s4, s15
	s_mov_b32 s5, 0
	v_ashrrev_i32_e32 v1, 31, v0
	s_lshl_b64 s[20:21], s[4:5], 3
	s_delay_alu instid0(VALU_DEP_1)
	v_lshlrev_b64 v[3:4], 3, v[0:1]
	s_waitcnt lgkmcnt(0)
	s_add_u32 s8, s8, s20
	s_addc_u32 s9, s9, s21
	s_lshl_b64 s[10:11], s[10:11], 3
	s_load_b64 s[16:17], s[8:9], 0x0
	s_clause 0x1
	s_load_b128 s[12:15], s[0:1], 0x28
	s_load_b64 s[8:9], s[0:1], 0x38
	s_waitcnt lgkmcnt(0)
	s_add_u32 s22, s16, s10
	s_addc_u32 s23, s17, s11
	s_add_u32 s10, s12, s20
	s_addc_u32 s11, s13, s21
	s_lshl_b64 s[12:13], s[14:15], 3
	s_load_b64 s[10:11], s[10:11], 0x0
	s_load_b128 s[16:19], s[0:1], 0x48
	v_add_co_u32 v0, vcc_lo, s22, v3
	v_add_co_ci_u32_e32 v1, vcc_lo, s23, v4, vcc_lo
	s_waitcnt lgkmcnt(0)
	s_add_u32 s2, s10, s12
	s_addc_u32 s4, s11, s13
	s_add_u32 s10, s16, s20
	s_addc_u32 s11, s17, s21
	s_load_b64 s[12:13], s[10:11], 0x0
	s_clause 0x1
	s_load_b32 s14, s[0:1], 0x74
	s_load_b64 s[10:11], s[0:1], 0x58
	s_lshl_b64 s[0:1], s[18:19], 3
	s_waitcnt lgkmcnt(0)
	s_add_u32 s0, s12, s0
	s_addc_u32 s1, s13, s1
	v_add_co_u32 v3, vcc_lo, s0, v3
	v_add_co_ci_u32_e32 v4, vcc_lo, s1, v4, vcc_lo
	s_lshl_b32 s1, s14, 4
.LBB23_2:                               ; =>This Inner Loop Header: Depth=1
	v_ashrrev_i32_e32 v9, 31, v2
	v_mul_lo_u32 v10, v2, s7
	v_mad_u64_u32 v[5:6], null, v2, s6, 0
	v_mul_lo_u32 v11, v2, s9
	s_delay_alu instid0(VALU_DEP_4) | instskip(SKIP_3) | instid1(VALU_DEP_4)
	v_mul_lo_u32 v12, v9, s6
	v_mad_u64_u32 v[7:8], null, v2, s8, 0
	v_mul_lo_u32 v13, v9, s8
	v_mul_lo_u32 v9, v9, s10
	v_add3_u32 v6, v6, v10, v12
	v_mul_lo_u32 v10, v2, s11
	s_delay_alu instid0(VALU_DEP_4) | instskip(NEXT) | instid1(VALU_DEP_3)
	v_add3_u32 v8, v8, v11, v13
	v_lshlrev_b64 v[5:6], 3, v[5:6]
	s_delay_alu instid0(VALU_DEP_2) | instskip(NEXT) | instid1(VALU_DEP_2)
	v_lshlrev_b64 v[7:8], 3, v[7:8]
	v_add_co_u32 v5, vcc_lo, v0, v5
	s_delay_alu instid0(VALU_DEP_3) | instskip(NEXT) | instid1(VALU_DEP_3)
	v_add_co_ci_u32_e32 v6, vcc_lo, v1, v6, vcc_lo
	v_add_co_u32 v7, vcc_lo, s2, v7
	s_delay_alu instid0(VALU_DEP_4)
	v_add_co_ci_u32_e32 v8, vcc_lo, s4, v8, vcc_lo
	global_load_b64 v[5:6], v[5:6], off
	global_load_b64 v[7:8], v[7:8], off
	s_waitcnt vmcnt(0)
	v_mul_f64 v[5:6], v[5:6], v[7:8]
	v_mad_u64_u32 v[7:8], null, v2, s10, 0
	v_add_nc_u32_e32 v2, s1, v2
	s_delay_alu instid0(VALU_DEP_1) | instskip(NEXT) | instid1(VALU_DEP_3)
	v_cmp_le_i32_e32 vcc_lo, s3, v2
	v_add3_u32 v8, v8, v10, v9
	s_or_b32 s5, vcc_lo, s5
	s_delay_alu instid0(VALU_DEP_1) | instskip(NEXT) | instid1(VALU_DEP_1)
	v_lshlrev_b64 v[7:8], 3, v[7:8]
	v_add_co_u32 v7, s0, v3, v7
	s_delay_alu instid0(VALU_DEP_1)
	v_add_co_ci_u32_e64 v8, s0, v4, v8, s0
	global_store_b64 v[7:8], v[5:6], off
	s_and_not1_b32 exec_lo, exec_lo, s5
	s_cbranch_execnz .LBB23_2
.LBB23_3:
	s_nop 0
	s_sendmsg sendmsg(MSG_DEALLOC_VGPRS)
	s_endpgm
	.section	.rodata,"a",@progbits
	.p2align	6, 0x0
	.amdhsa_kernel _ZL19rocblas_dgmm_kernelILi16ELi16ELb1EPKPKdPKPdEviiT2_lllS7_lllT3_llli
		.amdhsa_group_segment_fixed_size 0
		.amdhsa_private_segment_fixed_size 0
		.amdhsa_kernarg_size 368
		.amdhsa_user_sgpr_count 13
		.amdhsa_user_sgpr_dispatch_ptr 0
		.amdhsa_user_sgpr_queue_ptr 0
		.amdhsa_user_sgpr_kernarg_segment_ptr 1
		.amdhsa_user_sgpr_dispatch_id 0
		.amdhsa_user_sgpr_private_segment_size 0
		.amdhsa_wavefront_size32 1
		.amdhsa_uses_dynamic_stack 0
		.amdhsa_enable_private_segment 0
		.amdhsa_system_sgpr_workgroup_id_x 1
		.amdhsa_system_sgpr_workgroup_id_y 1
		.amdhsa_system_sgpr_workgroup_id_z 1
		.amdhsa_system_sgpr_workgroup_info 0
		.amdhsa_system_vgpr_workitem_id 1
		.amdhsa_next_free_vgpr 14
		.amdhsa_next_free_sgpr 24
		.amdhsa_reserve_vcc 1
		.amdhsa_float_round_mode_32 0
		.amdhsa_float_round_mode_16_64 0
		.amdhsa_float_denorm_mode_32 3
		.amdhsa_float_denorm_mode_16_64 3
		.amdhsa_dx10_clamp 1
		.amdhsa_ieee_mode 1
		.amdhsa_fp16_overflow 0
		.amdhsa_workgroup_processor_mode 1
		.amdhsa_memory_ordered 1
		.amdhsa_forward_progress 0
		.amdhsa_shared_vgpr_count 0
		.amdhsa_exception_fp_ieee_invalid_op 0
		.amdhsa_exception_fp_denorm_src 0
		.amdhsa_exception_fp_ieee_div_zero 0
		.amdhsa_exception_fp_ieee_overflow 0
		.amdhsa_exception_fp_ieee_underflow 0
		.amdhsa_exception_fp_ieee_inexact 0
		.amdhsa_exception_int_div_zero 0
	.end_amdhsa_kernel
	.section	.text._ZL19rocblas_dgmm_kernelILi16ELi16ELb1EPKPKdPKPdEviiT2_lllS7_lllT3_llli,"axG",@progbits,_ZL19rocblas_dgmm_kernelILi16ELi16ELb1EPKPKdPKPdEviiT2_lllS7_lllT3_llli,comdat
.Lfunc_end23:
	.size	_ZL19rocblas_dgmm_kernelILi16ELi16ELb1EPKPKdPKPdEviiT2_lllS7_lllT3_llli, .Lfunc_end23-_ZL19rocblas_dgmm_kernelILi16ELi16ELb1EPKPKdPKPdEviiT2_lllS7_lllT3_llli
                                        ; -- End function
	.section	.AMDGPU.csdata,"",@progbits
; Kernel info:
; codeLenInByte = 568
; NumSgprs: 26
; NumVgprs: 14
; ScratchSize: 0
; MemoryBound: 0
; FloatMode: 240
; IeeeMode: 1
; LDSByteSize: 0 bytes/workgroup (compile time only)
; SGPRBlocks: 3
; VGPRBlocks: 1
; NumSGPRsForWavesPerEU: 26
; NumVGPRsForWavesPerEU: 14
; Occupancy: 16
; WaveLimiterHint : 1
; COMPUTE_PGM_RSRC2:SCRATCH_EN: 0
; COMPUTE_PGM_RSRC2:USER_SGPR: 13
; COMPUTE_PGM_RSRC2:TRAP_HANDLER: 0
; COMPUTE_PGM_RSRC2:TGID_X_EN: 1
; COMPUTE_PGM_RSRC2:TGID_Y_EN: 1
; COMPUTE_PGM_RSRC2:TGID_Z_EN: 1
; COMPUTE_PGM_RSRC2:TIDIG_COMP_CNT: 1
	.section	.text._ZL26rocblas_dgmm_gfx942_kernelILi32ELi32ELb0EPKPK19rocblas_complex_numIfEPKPS1_EviiT2_lllS9_lllT3_lll,"axG",@progbits,_ZL26rocblas_dgmm_gfx942_kernelILi32ELi32ELb0EPKPK19rocblas_complex_numIfEPKPS1_EviiT2_lllS9_lllT3_lll,comdat
	.globl	_ZL26rocblas_dgmm_gfx942_kernelILi32ELi32ELb0EPKPK19rocblas_complex_numIfEPKPS1_EviiT2_lllS9_lllT3_lll ; -- Begin function _ZL26rocblas_dgmm_gfx942_kernelILi32ELi32ELb0EPKPK19rocblas_complex_numIfEPKPS1_EviiT2_lllS9_lllT3_lll
	.p2align	8
	.type	_ZL26rocblas_dgmm_gfx942_kernelILi32ELi32ELb0EPKPK19rocblas_complex_numIfEPKPS1_EviiT2_lllS9_lllT3_lll,@function
_ZL26rocblas_dgmm_gfx942_kernelILi32ELi32ELb0EPKPK19rocblas_complex_numIfEPKPS1_EviiT2_lllS9_lllT3_lll: ; @_ZL26rocblas_dgmm_gfx942_kernelILi32ELi32ELb0EPKPK19rocblas_complex_numIfEPKPS1_EviiT2_lllS9_lllT3_lll
; %bb.0:
	s_endpgm
	.section	.rodata,"a",@progbits
	.p2align	6, 0x0
	.amdhsa_kernel _ZL26rocblas_dgmm_gfx942_kernelILi32ELi32ELb0EPKPK19rocblas_complex_numIfEPKPS1_EviiT2_lllS9_lllT3_lll
		.amdhsa_group_segment_fixed_size 0
		.amdhsa_private_segment_fixed_size 0
		.amdhsa_kernarg_size 104
		.amdhsa_user_sgpr_count 15
		.amdhsa_user_sgpr_dispatch_ptr 0
		.amdhsa_user_sgpr_queue_ptr 0
		.amdhsa_user_sgpr_kernarg_segment_ptr 1
		.amdhsa_user_sgpr_dispatch_id 0
		.amdhsa_user_sgpr_private_segment_size 0
		.amdhsa_wavefront_size32 1
		.amdhsa_uses_dynamic_stack 0
		.amdhsa_enable_private_segment 0
		.amdhsa_system_sgpr_workgroup_id_x 1
		.amdhsa_system_sgpr_workgroup_id_y 0
		.amdhsa_system_sgpr_workgroup_id_z 0
		.amdhsa_system_sgpr_workgroup_info 0
		.amdhsa_system_vgpr_workitem_id 0
		.amdhsa_next_free_vgpr 1
		.amdhsa_next_free_sgpr 1
		.amdhsa_reserve_vcc 0
		.amdhsa_float_round_mode_32 0
		.amdhsa_float_round_mode_16_64 0
		.amdhsa_float_denorm_mode_32 3
		.amdhsa_float_denorm_mode_16_64 3
		.amdhsa_dx10_clamp 1
		.amdhsa_ieee_mode 1
		.amdhsa_fp16_overflow 0
		.amdhsa_workgroup_processor_mode 1
		.amdhsa_memory_ordered 1
		.amdhsa_forward_progress 0
		.amdhsa_shared_vgpr_count 0
		.amdhsa_exception_fp_ieee_invalid_op 0
		.amdhsa_exception_fp_denorm_src 0
		.amdhsa_exception_fp_ieee_div_zero 0
		.amdhsa_exception_fp_ieee_overflow 0
		.amdhsa_exception_fp_ieee_underflow 0
		.amdhsa_exception_fp_ieee_inexact 0
		.amdhsa_exception_int_div_zero 0
	.end_amdhsa_kernel
	.section	.text._ZL26rocblas_dgmm_gfx942_kernelILi32ELi32ELb0EPKPK19rocblas_complex_numIfEPKPS1_EviiT2_lllS9_lllT3_lll,"axG",@progbits,_ZL26rocblas_dgmm_gfx942_kernelILi32ELi32ELb0EPKPK19rocblas_complex_numIfEPKPS1_EviiT2_lllS9_lllT3_lll,comdat
.Lfunc_end24:
	.size	_ZL26rocblas_dgmm_gfx942_kernelILi32ELi32ELb0EPKPK19rocblas_complex_numIfEPKPS1_EviiT2_lllS9_lllT3_lll, .Lfunc_end24-_ZL26rocblas_dgmm_gfx942_kernelILi32ELi32ELb0EPKPK19rocblas_complex_numIfEPKPS1_EviiT2_lllS9_lllT3_lll
                                        ; -- End function
	.section	.AMDGPU.csdata,"",@progbits
; Kernel info:
; codeLenInByte = 4
; NumSgprs: 0
; NumVgprs: 0
; ScratchSize: 0
; MemoryBound: 0
; FloatMode: 240
; IeeeMode: 1
; LDSByteSize: 0 bytes/workgroup (compile time only)
; SGPRBlocks: 0
; VGPRBlocks: 0
; NumSGPRsForWavesPerEU: 1
; NumVGPRsForWavesPerEU: 1
; Occupancy: 16
; WaveLimiterHint : 0
; COMPUTE_PGM_RSRC2:SCRATCH_EN: 0
; COMPUTE_PGM_RSRC2:USER_SGPR: 15
; COMPUTE_PGM_RSRC2:TRAP_HANDLER: 0
; COMPUTE_PGM_RSRC2:TGID_X_EN: 1
; COMPUTE_PGM_RSRC2:TGID_Y_EN: 0
; COMPUTE_PGM_RSRC2:TGID_Z_EN: 0
; COMPUTE_PGM_RSRC2:TIDIG_COMP_CNT: 0
	.section	.text._ZL19rocblas_dgmm_kernelILi16ELi16ELb0EPKPK19rocblas_complex_numIfEPKPS1_EviiT2_lllS9_lllT3_llli,"axG",@progbits,_ZL19rocblas_dgmm_kernelILi16ELi16ELb0EPKPK19rocblas_complex_numIfEPKPS1_EviiT2_lllS9_lllT3_llli,comdat
	.globl	_ZL19rocblas_dgmm_kernelILi16ELi16ELb0EPKPK19rocblas_complex_numIfEPKPS1_EviiT2_lllS9_lllT3_llli ; -- Begin function _ZL19rocblas_dgmm_kernelILi16ELi16ELb0EPKPK19rocblas_complex_numIfEPKPS1_EviiT2_lllS9_lllT3_llli
	.p2align	8
	.type	_ZL19rocblas_dgmm_kernelILi16ELi16ELb0EPKPK19rocblas_complex_numIfEPKPS1_EviiT2_lllS9_lllT3_llli,@function
_ZL19rocblas_dgmm_kernelILi16ELi16ELb0EPKPK19rocblas_complex_numIfEPKPS1_EviiT2_lllS9_lllT3_llli: ; @_ZL19rocblas_dgmm_kernelILi16ELi16ELb0EPKPK19rocblas_complex_numIfEPKPS1_EviiT2_lllS9_lllT3_llli
; %bb.0:
	s_load_b64 s[2:3], s[0:1], 0x0
	v_and_b32_e32 v1, 0x3ff, v0
	v_bfe_u32 v2, v0, 10, 10
	s_delay_alu instid0(VALU_DEP_2) | instskip(NEXT) | instid1(VALU_DEP_2)
	v_lshl_add_u32 v0, s13, 4, v1
	v_lshl_add_u32 v2, s14, 4, v2
	s_waitcnt lgkmcnt(0)
	s_delay_alu instid0(VALU_DEP_2) | instskip(NEXT) | instid1(VALU_DEP_2)
	v_cmp_gt_i32_e32 vcc_lo, s2, v0
	v_cmp_gt_i32_e64 s2, s3, v2
	s_delay_alu instid0(VALU_DEP_1) | instskip(NEXT) | instid1(SALU_CYCLE_1)
	s_and_b32 s2, vcc_lo, s2
	s_and_saveexec_b32 s5, s2
	s_cbranch_execz .LBB25_3
; %bb.1:
	s_clause 0x1
	s_load_b128 s[8:11], s[0:1], 0x8
	s_load_b64 s[6:7], s[0:1], 0x18
	s_mov_b32 s4, s15
	s_mov_b32 s5, 0
	s_load_b64 s[18:19], s[0:1], 0x38
	s_lshl_b64 s[16:17], s[4:5], 3
	v_ashrrev_i32_e32 v1, 31, v0
	s_waitcnt lgkmcnt(0)
	s_add_u32 s8, s8, s16
	s_addc_u32 s9, s9, s17
	s_lshl_b64 s[10:11], s[10:11], 3
	s_load_b64 s[8:9], s[8:9], 0x0
	s_load_b128 s[12:15], s[0:1], 0x28
	v_mul_lo_u32 v5, v0, s19
	v_mul_lo_u32 v6, v1, s18
	v_mad_u64_u32 v[3:4], null, v0, s18, 0
	s_delay_alu instid0(VALU_DEP_1) | instskip(SKIP_1) | instid1(VALU_DEP_2)
	v_add3_u32 v4, v4, v5, v6
	v_lshlrev_b64 v[5:6], 3, v[0:1]
	v_lshlrev_b64 v[0:1], 3, v[3:4]
	s_waitcnt lgkmcnt(0)
	s_add_u32 s2, s8, s10
	s_addc_u32 s4, s9, s11
	s_add_u32 s8, s12, s16
	s_addc_u32 s9, s13, s17
	s_lshl_b64 s[14:15], s[14:15], 3
	s_load_b64 s[12:13], s[8:9], 0x0
	s_load_b128 s[8:11], s[0:1], 0x48
	v_add_co_u32 v3, vcc_lo, s2, v5
	v_add_co_ci_u32_e32 v4, vcc_lo, s4, v6, vcc_lo
	s_waitcnt lgkmcnt(0)
	s_add_u32 s14, s12, s14
	s_addc_u32 s15, s13, s15
	s_add_u32 s8, s8, s16
	s_addc_u32 s9, s9, s17
	v_add_co_u32 v0, vcc_lo, s14, v0
	s_load_b64 s[12:13], s[8:9], 0x0
	s_clause 0x1
	s_load_b32 s16, s[0:1], 0x74
	s_load_b64 s[8:9], s[0:1], 0x58
	s_lshl_b64 s[0:1], s[10:11], 3
	v_add_co_ci_u32_e32 v1, vcc_lo, s15, v1, vcc_lo
	s_waitcnt lgkmcnt(0)
	s_add_u32 s0, s12, s0
	s_addc_u32 s1, s13, s1
	v_add_co_u32 v5, vcc_lo, s0, v5
	v_add_co_ci_u32_e32 v6, vcc_lo, s1, v6, vcc_lo
	s_lshl_b32 s1, s16, 4
	s_set_inst_prefetch_distance 0x1
	.p2align	6
.LBB25_2:                               ; =>This Inner Loop Header: Depth=1
	v_ashrrev_i32_e32 v13, 31, v2
	v_mul_lo_u32 v9, v2, s7
	v_mad_u64_u32 v[7:8], null, v2, s6, 0
	v_mul_lo_u32 v14, v2, s9
	s_delay_alu instid0(VALU_DEP_4) | instskip(SKIP_2) | instid1(VALU_DEP_3)
	v_mul_lo_u32 v10, v13, s6
	v_mad_u64_u32 v[11:12], null, v2, s8, 0
	v_mul_lo_u32 v13, v13, s8
	v_add3_u32 v8, v8, v9, v10
	s_delay_alu instid0(VALU_DEP_2) | instskip(NEXT) | instid1(VALU_DEP_2)
	v_add3_u32 v12, v12, v14, v13
	v_lshlrev_b64 v[7:8], 3, v[7:8]
	s_delay_alu instid0(VALU_DEP_2) | instskip(NEXT) | instid1(VALU_DEP_2)
	v_lshlrev_b64 v[11:12], 3, v[11:12]
	v_add_co_u32 v7, vcc_lo, v3, v7
	s_delay_alu instid0(VALU_DEP_3) | instskip(NEXT) | instid1(VALU_DEP_3)
	v_add_co_ci_u32_e32 v8, vcc_lo, v4, v8, vcc_lo
	v_add_co_u32 v14, s0, v5, v11
	global_load_b64 v[9:10], v[0:1], off
	global_load_b64 v[7:8], v[7:8], off
	v_add_nc_u32_e32 v2, s1, v2
	v_add_co_ci_u32_e64 v15, s0, v6, v12, s0
	s_waitcnt vmcnt(0)
	v_mul_f32_e32 v13, v9, v8
	v_mul_f32_e32 v16, v10, v8
	v_cmp_le_i32_e32 vcc_lo, s3, v2
	s_delay_alu instid0(VALU_DEP_3) | instskip(NEXT) | instid1(VALU_DEP_3)
	v_fmac_f32_e32 v13, v10, v7
	v_fma_f32 v12, v9, v7, -v16
	s_or_b32 s5, vcc_lo, s5
	global_store_b64 v[14:15], v[12:13], off
	s_and_not1_b32 exec_lo, exec_lo, s5
	s_cbranch_execnz .LBB25_2
.LBB25_3:
	s_set_inst_prefetch_distance 0x2
	s_nop 0
	s_sendmsg sendmsg(MSG_DEALLOC_VGPRS)
	s_endpgm
	.section	.rodata,"a",@progbits
	.p2align	6, 0x0
	.amdhsa_kernel _ZL19rocblas_dgmm_kernelILi16ELi16ELb0EPKPK19rocblas_complex_numIfEPKPS1_EviiT2_lllS9_lllT3_llli
		.amdhsa_group_segment_fixed_size 0
		.amdhsa_private_segment_fixed_size 0
		.amdhsa_kernarg_size 368
		.amdhsa_user_sgpr_count 13
		.amdhsa_user_sgpr_dispatch_ptr 0
		.amdhsa_user_sgpr_queue_ptr 0
		.amdhsa_user_sgpr_kernarg_segment_ptr 1
		.amdhsa_user_sgpr_dispatch_id 0
		.amdhsa_user_sgpr_private_segment_size 0
		.amdhsa_wavefront_size32 1
		.amdhsa_uses_dynamic_stack 0
		.amdhsa_enable_private_segment 0
		.amdhsa_system_sgpr_workgroup_id_x 1
		.amdhsa_system_sgpr_workgroup_id_y 1
		.amdhsa_system_sgpr_workgroup_id_z 1
		.amdhsa_system_sgpr_workgroup_info 0
		.amdhsa_system_vgpr_workitem_id 1
		.amdhsa_next_free_vgpr 17
		.amdhsa_next_free_sgpr 20
		.amdhsa_reserve_vcc 1
		.amdhsa_float_round_mode_32 0
		.amdhsa_float_round_mode_16_64 0
		.amdhsa_float_denorm_mode_32 3
		.amdhsa_float_denorm_mode_16_64 3
		.amdhsa_dx10_clamp 1
		.amdhsa_ieee_mode 1
		.amdhsa_fp16_overflow 0
		.amdhsa_workgroup_processor_mode 1
		.amdhsa_memory_ordered 1
		.amdhsa_forward_progress 0
		.amdhsa_shared_vgpr_count 0
		.amdhsa_exception_fp_ieee_invalid_op 0
		.amdhsa_exception_fp_denorm_src 0
		.amdhsa_exception_fp_ieee_div_zero 0
		.amdhsa_exception_fp_ieee_overflow 0
		.amdhsa_exception_fp_ieee_underflow 0
		.amdhsa_exception_fp_ieee_inexact 0
		.amdhsa_exception_int_div_zero 0
	.end_amdhsa_kernel
	.section	.text._ZL19rocblas_dgmm_kernelILi16ELi16ELb0EPKPK19rocblas_complex_numIfEPKPS1_EviiT2_lllS9_lllT3_llli,"axG",@progbits,_ZL19rocblas_dgmm_kernelILi16ELi16ELb0EPKPK19rocblas_complex_numIfEPKPS1_EviiT2_lllS9_lllT3_llli,comdat
.Lfunc_end25:
	.size	_ZL19rocblas_dgmm_kernelILi16ELi16ELb0EPKPK19rocblas_complex_numIfEPKPS1_EviiT2_lllS9_lllT3_llli, .Lfunc_end25-_ZL19rocblas_dgmm_kernelILi16ELi16ELb0EPKPK19rocblas_complex_numIfEPKPS1_EviiT2_lllS9_lllT3_llli
                                        ; -- End function
	.section	.AMDGPU.csdata,"",@progbits
; Kernel info:
; codeLenInByte = 572
; NumSgprs: 22
; NumVgprs: 17
; ScratchSize: 0
; MemoryBound: 0
; FloatMode: 240
; IeeeMode: 1
; LDSByteSize: 0 bytes/workgroup (compile time only)
; SGPRBlocks: 2
; VGPRBlocks: 2
; NumSGPRsForWavesPerEU: 22
; NumVGPRsForWavesPerEU: 17
; Occupancy: 16
; WaveLimiterHint : 1
; COMPUTE_PGM_RSRC2:SCRATCH_EN: 0
; COMPUTE_PGM_RSRC2:USER_SGPR: 13
; COMPUTE_PGM_RSRC2:TRAP_HANDLER: 0
; COMPUTE_PGM_RSRC2:TGID_X_EN: 1
; COMPUTE_PGM_RSRC2:TGID_Y_EN: 1
; COMPUTE_PGM_RSRC2:TGID_Z_EN: 1
; COMPUTE_PGM_RSRC2:TIDIG_COMP_CNT: 1
	.section	.text._ZL26rocblas_dgmm_gfx942_kernelILi32ELi32ELb1EPKPK19rocblas_complex_numIfEPKPS1_EviiT2_lllS9_lllT3_lll,"axG",@progbits,_ZL26rocblas_dgmm_gfx942_kernelILi32ELi32ELb1EPKPK19rocblas_complex_numIfEPKPS1_EviiT2_lllS9_lllT3_lll,comdat
	.globl	_ZL26rocblas_dgmm_gfx942_kernelILi32ELi32ELb1EPKPK19rocblas_complex_numIfEPKPS1_EviiT2_lllS9_lllT3_lll ; -- Begin function _ZL26rocblas_dgmm_gfx942_kernelILi32ELi32ELb1EPKPK19rocblas_complex_numIfEPKPS1_EviiT2_lllS9_lllT3_lll
	.p2align	8
	.type	_ZL26rocblas_dgmm_gfx942_kernelILi32ELi32ELb1EPKPK19rocblas_complex_numIfEPKPS1_EviiT2_lllS9_lllT3_lll,@function
_ZL26rocblas_dgmm_gfx942_kernelILi32ELi32ELb1EPKPK19rocblas_complex_numIfEPKPS1_EviiT2_lllS9_lllT3_lll: ; @_ZL26rocblas_dgmm_gfx942_kernelILi32ELi32ELb1EPKPK19rocblas_complex_numIfEPKPS1_EviiT2_lllS9_lllT3_lll
; %bb.0:
	s_endpgm
	.section	.rodata,"a",@progbits
	.p2align	6, 0x0
	.amdhsa_kernel _ZL26rocblas_dgmm_gfx942_kernelILi32ELi32ELb1EPKPK19rocblas_complex_numIfEPKPS1_EviiT2_lllS9_lllT3_lll
		.amdhsa_group_segment_fixed_size 0
		.amdhsa_private_segment_fixed_size 0
		.amdhsa_kernarg_size 104
		.amdhsa_user_sgpr_count 15
		.amdhsa_user_sgpr_dispatch_ptr 0
		.amdhsa_user_sgpr_queue_ptr 0
		.amdhsa_user_sgpr_kernarg_segment_ptr 1
		.amdhsa_user_sgpr_dispatch_id 0
		.amdhsa_user_sgpr_private_segment_size 0
		.amdhsa_wavefront_size32 1
		.amdhsa_uses_dynamic_stack 0
		.amdhsa_enable_private_segment 0
		.amdhsa_system_sgpr_workgroup_id_x 1
		.amdhsa_system_sgpr_workgroup_id_y 0
		.amdhsa_system_sgpr_workgroup_id_z 0
		.amdhsa_system_sgpr_workgroup_info 0
		.amdhsa_system_vgpr_workitem_id 0
		.amdhsa_next_free_vgpr 1
		.amdhsa_next_free_sgpr 1
		.amdhsa_reserve_vcc 0
		.amdhsa_float_round_mode_32 0
		.amdhsa_float_round_mode_16_64 0
		.amdhsa_float_denorm_mode_32 3
		.amdhsa_float_denorm_mode_16_64 3
		.amdhsa_dx10_clamp 1
		.amdhsa_ieee_mode 1
		.amdhsa_fp16_overflow 0
		.amdhsa_workgroup_processor_mode 1
		.amdhsa_memory_ordered 1
		.amdhsa_forward_progress 0
		.amdhsa_shared_vgpr_count 0
		.amdhsa_exception_fp_ieee_invalid_op 0
		.amdhsa_exception_fp_denorm_src 0
		.amdhsa_exception_fp_ieee_div_zero 0
		.amdhsa_exception_fp_ieee_overflow 0
		.amdhsa_exception_fp_ieee_underflow 0
		.amdhsa_exception_fp_ieee_inexact 0
		.amdhsa_exception_int_div_zero 0
	.end_amdhsa_kernel
	.section	.text._ZL26rocblas_dgmm_gfx942_kernelILi32ELi32ELb1EPKPK19rocblas_complex_numIfEPKPS1_EviiT2_lllS9_lllT3_lll,"axG",@progbits,_ZL26rocblas_dgmm_gfx942_kernelILi32ELi32ELb1EPKPK19rocblas_complex_numIfEPKPS1_EviiT2_lllS9_lllT3_lll,comdat
.Lfunc_end26:
	.size	_ZL26rocblas_dgmm_gfx942_kernelILi32ELi32ELb1EPKPK19rocblas_complex_numIfEPKPS1_EviiT2_lllS9_lllT3_lll, .Lfunc_end26-_ZL26rocblas_dgmm_gfx942_kernelILi32ELi32ELb1EPKPK19rocblas_complex_numIfEPKPS1_EviiT2_lllS9_lllT3_lll
                                        ; -- End function
	.section	.AMDGPU.csdata,"",@progbits
; Kernel info:
; codeLenInByte = 4
; NumSgprs: 0
; NumVgprs: 0
; ScratchSize: 0
; MemoryBound: 0
; FloatMode: 240
; IeeeMode: 1
; LDSByteSize: 0 bytes/workgroup (compile time only)
; SGPRBlocks: 0
; VGPRBlocks: 0
; NumSGPRsForWavesPerEU: 1
; NumVGPRsForWavesPerEU: 1
; Occupancy: 16
; WaveLimiterHint : 0
; COMPUTE_PGM_RSRC2:SCRATCH_EN: 0
; COMPUTE_PGM_RSRC2:USER_SGPR: 15
; COMPUTE_PGM_RSRC2:TRAP_HANDLER: 0
; COMPUTE_PGM_RSRC2:TGID_X_EN: 1
; COMPUTE_PGM_RSRC2:TGID_Y_EN: 0
; COMPUTE_PGM_RSRC2:TGID_Z_EN: 0
; COMPUTE_PGM_RSRC2:TIDIG_COMP_CNT: 0
	.section	.text._ZL19rocblas_dgmm_kernelILi16ELi16ELb1EPKPK19rocblas_complex_numIfEPKPS1_EviiT2_lllS9_lllT3_llli,"axG",@progbits,_ZL19rocblas_dgmm_kernelILi16ELi16ELb1EPKPK19rocblas_complex_numIfEPKPS1_EviiT2_lllS9_lllT3_llli,comdat
	.globl	_ZL19rocblas_dgmm_kernelILi16ELi16ELb1EPKPK19rocblas_complex_numIfEPKPS1_EviiT2_lllS9_lllT3_llli ; -- Begin function _ZL19rocblas_dgmm_kernelILi16ELi16ELb1EPKPK19rocblas_complex_numIfEPKPS1_EviiT2_lllS9_lllT3_llli
	.p2align	8
	.type	_ZL19rocblas_dgmm_kernelILi16ELi16ELb1EPKPK19rocblas_complex_numIfEPKPS1_EviiT2_lllS9_lllT3_llli,@function
_ZL19rocblas_dgmm_kernelILi16ELi16ELb1EPKPK19rocblas_complex_numIfEPKPS1_EviiT2_lllS9_lllT3_llli: ; @_ZL19rocblas_dgmm_kernelILi16ELi16ELb1EPKPK19rocblas_complex_numIfEPKPS1_EviiT2_lllS9_lllT3_llli
; %bb.0:
	s_load_b64 s[2:3], s[0:1], 0x0
	v_and_b32_e32 v1, 0x3ff, v0
	v_bfe_u32 v2, v0, 10, 10
	s_delay_alu instid0(VALU_DEP_2) | instskip(NEXT) | instid1(VALU_DEP_2)
	v_lshl_add_u32 v0, s13, 4, v1
	v_lshl_add_u32 v2, s14, 4, v2
	s_waitcnt lgkmcnt(0)
	s_delay_alu instid0(VALU_DEP_2) | instskip(NEXT) | instid1(VALU_DEP_2)
	v_cmp_gt_i32_e32 vcc_lo, s2, v0
	v_cmp_gt_i32_e64 s2, s3, v2
	s_delay_alu instid0(VALU_DEP_1) | instskip(NEXT) | instid1(SALU_CYCLE_1)
	s_and_b32 s2, vcc_lo, s2
	s_and_saveexec_b32 s5, s2
	s_cbranch_execz .LBB27_3
; %bb.1:
	s_clause 0x1
	s_load_b128 s[8:11], s[0:1], 0x8
	s_load_b64 s[6:7], s[0:1], 0x18
	s_mov_b32 s4, s15
	s_mov_b32 s5, 0
	v_ashrrev_i32_e32 v1, 31, v0
	s_lshl_b64 s[20:21], s[4:5], 3
	s_delay_alu instid0(VALU_DEP_1)
	v_lshlrev_b64 v[3:4], 3, v[0:1]
	s_waitcnt lgkmcnt(0)
	s_add_u32 s8, s8, s20
	s_addc_u32 s9, s9, s21
	s_lshl_b64 s[10:11], s[10:11], 3
	s_load_b64 s[16:17], s[8:9], 0x0
	s_clause 0x1
	s_load_b128 s[12:15], s[0:1], 0x28
	s_load_b64 s[8:9], s[0:1], 0x38
	s_waitcnt lgkmcnt(0)
	s_add_u32 s22, s16, s10
	s_addc_u32 s23, s17, s11
	s_add_u32 s10, s12, s20
	s_addc_u32 s11, s13, s21
	s_lshl_b64 s[12:13], s[14:15], 3
	s_load_b64 s[10:11], s[10:11], 0x0
	s_load_b128 s[16:19], s[0:1], 0x48
	v_add_co_u32 v0, vcc_lo, s22, v3
	v_add_co_ci_u32_e32 v1, vcc_lo, s23, v4, vcc_lo
	s_waitcnt lgkmcnt(0)
	s_add_u32 s2, s10, s12
	s_addc_u32 s4, s11, s13
	s_add_u32 s10, s16, s20
	s_addc_u32 s11, s17, s21
	s_load_b64 s[12:13], s[10:11], 0x0
	s_clause 0x1
	s_load_b32 s14, s[0:1], 0x74
	s_load_b64 s[10:11], s[0:1], 0x58
	s_lshl_b64 s[0:1], s[18:19], 3
	s_waitcnt lgkmcnt(0)
	s_add_u32 s0, s12, s0
	s_addc_u32 s1, s13, s1
	v_add_co_u32 v3, vcc_lo, s0, v3
	v_add_co_ci_u32_e32 v4, vcc_lo, s1, v4, vcc_lo
	s_lshl_b32 s1, s14, 4
.LBB27_2:                               ; =>This Inner Loop Header: Depth=1
	v_ashrrev_i32_e32 v11, 31, v2
	v_mul_lo_u32 v9, v2, s7
	v_mad_u64_u32 v[5:6], null, v2, s6, 0
	v_mul_lo_u32 v10, v2, s9
	s_delay_alu instid0(VALU_DEP_4) | instskip(SKIP_3) | instid1(VALU_DEP_4)
	v_mul_lo_u32 v12, v11, s6
	v_mad_u64_u32 v[7:8], null, v2, s8, 0
	v_mul_lo_u32 v13, v11, s8
	v_mul_lo_u32 v11, v11, s10
	v_add3_u32 v6, v6, v9, v12
	v_mul_lo_u32 v12, v2, s11
	s_delay_alu instid0(VALU_DEP_4) | instskip(SKIP_1) | instid1(VALU_DEP_4)
	v_add3_u32 v8, v8, v10, v13
	v_mad_u64_u32 v[9:10], null, v2, s10, 0
	v_lshlrev_b64 v[5:6], 3, v[5:6]
	s_delay_alu instid0(VALU_DEP_3) | instskip(NEXT) | instid1(VALU_DEP_3)
	v_lshlrev_b64 v[7:8], 3, v[7:8]
	v_add3_u32 v10, v10, v12, v11
	s_delay_alu instid0(VALU_DEP_3) | instskip(NEXT) | instid1(VALU_DEP_4)
	v_add_co_u32 v5, vcc_lo, v0, v5
	v_add_co_ci_u32_e32 v6, vcc_lo, v1, v6, vcc_lo
	s_delay_alu instid0(VALU_DEP_4) | instskip(SKIP_4) | instid1(VALU_DEP_1)
	v_add_co_u32 v7, vcc_lo, s2, v7
	v_add_co_ci_u32_e32 v8, vcc_lo, s4, v8, vcc_lo
	global_load_b64 v[5:6], v[5:6], off
	global_load_b64 v[7:8], v[7:8], off
	v_lshlrev_b64 v[9:10], 3, v[9:10]
	v_add_co_u32 v12, s0, v3, v9
	s_delay_alu instid0(VALU_DEP_1) | instskip(SKIP_4) | instid1(VALU_DEP_3)
	v_add_co_ci_u32_e64 v13, s0, v4, v10, s0
	s_waitcnt vmcnt(0)
	v_mul_f32_e32 v11, v7, v6
	v_add_nc_u32_e32 v2, s1, v2
	v_mul_f32_e32 v14, v8, v6
	v_fmac_f32_e32 v11, v8, v5
	s_delay_alu instid0(VALU_DEP_3) | instskip(NEXT) | instid1(VALU_DEP_3)
	v_cmp_le_i32_e32 vcc_lo, s3, v2
	v_fma_f32 v10, v7, v5, -v14
	s_or_b32 s5, vcc_lo, s5
	global_store_b64 v[12:13], v[10:11], off
	s_and_not1_b32 exec_lo, exec_lo, s5
	s_cbranch_execnz .LBB27_2
.LBB27_3:
	s_nop 0
	s_sendmsg sendmsg(MSG_DEALLOC_VGPRS)
	s_endpgm
	.section	.rodata,"a",@progbits
	.p2align	6, 0x0
	.amdhsa_kernel _ZL19rocblas_dgmm_kernelILi16ELi16ELb1EPKPK19rocblas_complex_numIfEPKPS1_EviiT2_lllS9_lllT3_llli
		.amdhsa_group_segment_fixed_size 0
		.amdhsa_private_segment_fixed_size 0
		.amdhsa_kernarg_size 368
		.amdhsa_user_sgpr_count 13
		.amdhsa_user_sgpr_dispatch_ptr 0
		.amdhsa_user_sgpr_queue_ptr 0
		.amdhsa_user_sgpr_kernarg_segment_ptr 1
		.amdhsa_user_sgpr_dispatch_id 0
		.amdhsa_user_sgpr_private_segment_size 0
		.amdhsa_wavefront_size32 1
		.amdhsa_uses_dynamic_stack 0
		.amdhsa_enable_private_segment 0
		.amdhsa_system_sgpr_workgroup_id_x 1
		.amdhsa_system_sgpr_workgroup_id_y 1
		.amdhsa_system_sgpr_workgroup_id_z 1
		.amdhsa_system_sgpr_workgroup_info 0
		.amdhsa_system_vgpr_workitem_id 1
		.amdhsa_next_free_vgpr 15
		.amdhsa_next_free_sgpr 24
		.amdhsa_reserve_vcc 1
		.amdhsa_float_round_mode_32 0
		.amdhsa_float_round_mode_16_64 0
		.amdhsa_float_denorm_mode_32 3
		.amdhsa_float_denorm_mode_16_64 3
		.amdhsa_dx10_clamp 1
		.amdhsa_ieee_mode 1
		.amdhsa_fp16_overflow 0
		.amdhsa_workgroup_processor_mode 1
		.amdhsa_memory_ordered 1
		.amdhsa_forward_progress 0
		.amdhsa_shared_vgpr_count 0
		.amdhsa_exception_fp_ieee_invalid_op 0
		.amdhsa_exception_fp_denorm_src 0
		.amdhsa_exception_fp_ieee_div_zero 0
		.amdhsa_exception_fp_ieee_overflow 0
		.amdhsa_exception_fp_ieee_underflow 0
		.amdhsa_exception_fp_ieee_inexact 0
		.amdhsa_exception_int_div_zero 0
	.end_amdhsa_kernel
	.section	.text._ZL19rocblas_dgmm_kernelILi16ELi16ELb1EPKPK19rocblas_complex_numIfEPKPS1_EviiT2_lllS9_lllT3_llli,"axG",@progbits,_ZL19rocblas_dgmm_kernelILi16ELi16ELb1EPKPK19rocblas_complex_numIfEPKPS1_EviiT2_lllS9_lllT3_llli,comdat
.Lfunc_end27:
	.size	_ZL19rocblas_dgmm_kernelILi16ELi16ELb1EPKPK19rocblas_complex_numIfEPKPS1_EviiT2_lllS9_lllT3_llli, .Lfunc_end27-_ZL19rocblas_dgmm_kernelILi16ELi16ELb1EPKPK19rocblas_complex_numIfEPKPS1_EviiT2_lllS9_lllT3_llli
                                        ; -- End function
	.section	.AMDGPU.csdata,"",@progbits
; Kernel info:
; codeLenInByte = 576
; NumSgprs: 26
; NumVgprs: 15
; ScratchSize: 0
; MemoryBound: 0
; FloatMode: 240
; IeeeMode: 1
; LDSByteSize: 0 bytes/workgroup (compile time only)
; SGPRBlocks: 3
; VGPRBlocks: 1
; NumSGPRsForWavesPerEU: 26
; NumVGPRsForWavesPerEU: 15
; Occupancy: 16
; WaveLimiterHint : 1
; COMPUTE_PGM_RSRC2:SCRATCH_EN: 0
; COMPUTE_PGM_RSRC2:USER_SGPR: 13
; COMPUTE_PGM_RSRC2:TRAP_HANDLER: 0
; COMPUTE_PGM_RSRC2:TGID_X_EN: 1
; COMPUTE_PGM_RSRC2:TGID_Y_EN: 1
; COMPUTE_PGM_RSRC2:TGID_Z_EN: 1
; COMPUTE_PGM_RSRC2:TIDIG_COMP_CNT: 1
	.section	.text._ZL26rocblas_dgmm_gfx942_kernelILi32ELi32ELb0EPKPK19rocblas_complex_numIdEPKPS1_EviiT2_lllS9_lllT3_lll,"axG",@progbits,_ZL26rocblas_dgmm_gfx942_kernelILi32ELi32ELb0EPKPK19rocblas_complex_numIdEPKPS1_EviiT2_lllS9_lllT3_lll,comdat
	.globl	_ZL26rocblas_dgmm_gfx942_kernelILi32ELi32ELb0EPKPK19rocblas_complex_numIdEPKPS1_EviiT2_lllS9_lllT3_lll ; -- Begin function _ZL26rocblas_dgmm_gfx942_kernelILi32ELi32ELb0EPKPK19rocblas_complex_numIdEPKPS1_EviiT2_lllS9_lllT3_lll
	.p2align	8
	.type	_ZL26rocblas_dgmm_gfx942_kernelILi32ELi32ELb0EPKPK19rocblas_complex_numIdEPKPS1_EviiT2_lllS9_lllT3_lll,@function
_ZL26rocblas_dgmm_gfx942_kernelILi32ELi32ELb0EPKPK19rocblas_complex_numIdEPKPS1_EviiT2_lllS9_lllT3_lll: ; @_ZL26rocblas_dgmm_gfx942_kernelILi32ELi32ELb0EPKPK19rocblas_complex_numIdEPKPS1_EviiT2_lllS9_lllT3_lll
; %bb.0:
	s_endpgm
	.section	.rodata,"a",@progbits
	.p2align	6, 0x0
	.amdhsa_kernel _ZL26rocblas_dgmm_gfx942_kernelILi32ELi32ELb0EPKPK19rocblas_complex_numIdEPKPS1_EviiT2_lllS9_lllT3_lll
		.amdhsa_group_segment_fixed_size 0
		.amdhsa_private_segment_fixed_size 0
		.amdhsa_kernarg_size 104
		.amdhsa_user_sgpr_count 15
		.amdhsa_user_sgpr_dispatch_ptr 0
		.amdhsa_user_sgpr_queue_ptr 0
		.amdhsa_user_sgpr_kernarg_segment_ptr 1
		.amdhsa_user_sgpr_dispatch_id 0
		.amdhsa_user_sgpr_private_segment_size 0
		.amdhsa_wavefront_size32 1
		.amdhsa_uses_dynamic_stack 0
		.amdhsa_enable_private_segment 0
		.amdhsa_system_sgpr_workgroup_id_x 1
		.amdhsa_system_sgpr_workgroup_id_y 0
		.amdhsa_system_sgpr_workgroup_id_z 0
		.amdhsa_system_sgpr_workgroup_info 0
		.amdhsa_system_vgpr_workitem_id 0
		.amdhsa_next_free_vgpr 1
		.amdhsa_next_free_sgpr 1
		.amdhsa_reserve_vcc 0
		.amdhsa_float_round_mode_32 0
		.amdhsa_float_round_mode_16_64 0
		.amdhsa_float_denorm_mode_32 3
		.amdhsa_float_denorm_mode_16_64 3
		.amdhsa_dx10_clamp 1
		.amdhsa_ieee_mode 1
		.amdhsa_fp16_overflow 0
		.amdhsa_workgroup_processor_mode 1
		.amdhsa_memory_ordered 1
		.amdhsa_forward_progress 0
		.amdhsa_shared_vgpr_count 0
		.amdhsa_exception_fp_ieee_invalid_op 0
		.amdhsa_exception_fp_denorm_src 0
		.amdhsa_exception_fp_ieee_div_zero 0
		.amdhsa_exception_fp_ieee_overflow 0
		.amdhsa_exception_fp_ieee_underflow 0
		.amdhsa_exception_fp_ieee_inexact 0
		.amdhsa_exception_int_div_zero 0
	.end_amdhsa_kernel
	.section	.text._ZL26rocblas_dgmm_gfx942_kernelILi32ELi32ELb0EPKPK19rocblas_complex_numIdEPKPS1_EviiT2_lllS9_lllT3_lll,"axG",@progbits,_ZL26rocblas_dgmm_gfx942_kernelILi32ELi32ELb0EPKPK19rocblas_complex_numIdEPKPS1_EviiT2_lllS9_lllT3_lll,comdat
.Lfunc_end28:
	.size	_ZL26rocblas_dgmm_gfx942_kernelILi32ELi32ELb0EPKPK19rocblas_complex_numIdEPKPS1_EviiT2_lllS9_lllT3_lll, .Lfunc_end28-_ZL26rocblas_dgmm_gfx942_kernelILi32ELi32ELb0EPKPK19rocblas_complex_numIdEPKPS1_EviiT2_lllS9_lllT3_lll
                                        ; -- End function
	.section	.AMDGPU.csdata,"",@progbits
; Kernel info:
; codeLenInByte = 4
; NumSgprs: 0
; NumVgprs: 0
; ScratchSize: 0
; MemoryBound: 0
; FloatMode: 240
; IeeeMode: 1
; LDSByteSize: 0 bytes/workgroup (compile time only)
; SGPRBlocks: 0
; VGPRBlocks: 0
; NumSGPRsForWavesPerEU: 1
; NumVGPRsForWavesPerEU: 1
; Occupancy: 16
; WaveLimiterHint : 0
; COMPUTE_PGM_RSRC2:SCRATCH_EN: 0
; COMPUTE_PGM_RSRC2:USER_SGPR: 15
; COMPUTE_PGM_RSRC2:TRAP_HANDLER: 0
; COMPUTE_PGM_RSRC2:TGID_X_EN: 1
; COMPUTE_PGM_RSRC2:TGID_Y_EN: 0
; COMPUTE_PGM_RSRC2:TGID_Z_EN: 0
; COMPUTE_PGM_RSRC2:TIDIG_COMP_CNT: 0
	.section	.text._ZL19rocblas_dgmm_kernelILi16ELi16ELb0EPKPK19rocblas_complex_numIdEPKPS1_EviiT2_lllS9_lllT3_llli,"axG",@progbits,_ZL19rocblas_dgmm_kernelILi16ELi16ELb0EPKPK19rocblas_complex_numIdEPKPS1_EviiT2_lllS9_lllT3_llli,comdat
	.globl	_ZL19rocblas_dgmm_kernelILi16ELi16ELb0EPKPK19rocblas_complex_numIdEPKPS1_EviiT2_lllS9_lllT3_llli ; -- Begin function _ZL19rocblas_dgmm_kernelILi16ELi16ELb0EPKPK19rocblas_complex_numIdEPKPS1_EviiT2_lllS9_lllT3_llli
	.p2align	8
	.type	_ZL19rocblas_dgmm_kernelILi16ELi16ELb0EPKPK19rocblas_complex_numIdEPKPS1_EviiT2_lllS9_lllT3_llli,@function
_ZL19rocblas_dgmm_kernelILi16ELi16ELb0EPKPK19rocblas_complex_numIdEPKPS1_EviiT2_lllS9_lllT3_llli: ; @_ZL19rocblas_dgmm_kernelILi16ELi16ELb0EPKPK19rocblas_complex_numIdEPKPS1_EviiT2_lllS9_lllT3_llli
; %bb.0:
	s_load_b64 s[2:3], s[0:1], 0x0
	v_and_b32_e32 v1, 0x3ff, v0
	v_bfe_u32 v2, v0, 10, 10
	s_delay_alu instid0(VALU_DEP_2) | instskip(NEXT) | instid1(VALU_DEP_2)
	v_lshl_add_u32 v0, s13, 4, v1
	v_lshl_add_u32 v2, s14, 4, v2
	s_waitcnt lgkmcnt(0)
	s_delay_alu instid0(VALU_DEP_2) | instskip(NEXT) | instid1(VALU_DEP_2)
	v_cmp_gt_i32_e32 vcc_lo, s2, v0
	v_cmp_gt_i32_e64 s2, s3, v2
	s_delay_alu instid0(VALU_DEP_1) | instskip(NEXT) | instid1(SALU_CYCLE_1)
	s_and_b32 s2, vcc_lo, s2
	s_and_saveexec_b32 s5, s2
	s_cbranch_execz .LBB29_3
; %bb.1:
	s_clause 0x1
	s_load_b128 s[8:11], s[0:1], 0x8
	s_load_b64 s[6:7], s[0:1], 0x18
	s_mov_b32 s4, s15
	s_mov_b32 s5, 0
	s_load_b64 s[18:19], s[0:1], 0x38
	s_lshl_b64 s[16:17], s[4:5], 3
	v_ashrrev_i32_e32 v1, 31, v0
	s_waitcnt lgkmcnt(0)
	s_add_u32 s8, s8, s16
	s_addc_u32 s9, s9, s17
	s_lshl_b64 s[10:11], s[10:11], 4
	s_load_b64 s[8:9], s[8:9], 0x0
	s_load_b128 s[12:15], s[0:1], 0x28
	v_mul_lo_u32 v5, v0, s19
	v_mul_lo_u32 v6, v1, s18
	v_mad_u64_u32 v[3:4], null, v0, s18, 0
	s_delay_alu instid0(VALU_DEP_1) | instskip(SKIP_1) | instid1(VALU_DEP_2)
	v_add3_u32 v4, v4, v5, v6
	v_lshlrev_b64 v[5:6], 4, v[0:1]
	v_lshlrev_b64 v[0:1], 4, v[3:4]
	s_waitcnt lgkmcnt(0)
	s_add_u32 s2, s8, s10
	s_addc_u32 s4, s9, s11
	s_add_u32 s8, s12, s16
	s_addc_u32 s9, s13, s17
	s_lshl_b64 s[14:15], s[14:15], 4
	s_load_b64 s[12:13], s[8:9], 0x0
	s_load_b128 s[8:11], s[0:1], 0x48
	v_add_co_u32 v3, vcc_lo, s2, v5
	v_add_co_ci_u32_e32 v4, vcc_lo, s4, v6, vcc_lo
	s_waitcnt lgkmcnt(0)
	s_add_u32 s14, s12, s14
	s_addc_u32 s15, s13, s15
	s_add_u32 s8, s8, s16
	s_addc_u32 s9, s9, s17
	v_add_co_u32 v0, vcc_lo, s14, v0
	s_load_b64 s[12:13], s[8:9], 0x0
	s_clause 0x1
	s_load_b32 s16, s[0:1], 0x74
	s_load_b64 s[8:9], s[0:1], 0x58
	s_lshl_b64 s[0:1], s[10:11], 4
	v_add_co_ci_u32_e32 v1, vcc_lo, s15, v1, vcc_lo
	s_waitcnt lgkmcnt(0)
	s_add_u32 s0, s12, s0
	s_addc_u32 s1, s13, s1
	v_add_co_u32 v5, vcc_lo, s0, v5
	v_add_co_ci_u32_e32 v6, vcc_lo, s1, v6, vcc_lo
	s_lshl_b32 s1, s16, 4
	s_set_inst_prefetch_distance 0x1
	.p2align	6
.LBB29_2:                               ; =>This Inner Loop Header: Depth=1
	v_ashrrev_i32_e32 v17, 31, v2
	v_mul_lo_u32 v9, v2, s7
	v_mad_u64_u32 v[7:8], null, v2, s6, 0
	s_delay_alu instid0(VALU_DEP_3) | instskip(NEXT) | instid1(VALU_DEP_1)
	v_mul_lo_u32 v10, v17, s6
	v_add3_u32 v8, v8, v9, v10
	s_delay_alu instid0(VALU_DEP_1) | instskip(NEXT) | instid1(VALU_DEP_1)
	v_lshlrev_b64 v[7:8], 4, v[7:8]
	v_add_co_u32 v11, vcc_lo, v3, v7
	s_delay_alu instid0(VALU_DEP_2)
	v_add_co_ci_u32_e32 v12, vcc_lo, v4, v8, vcc_lo
	global_load_b128 v[7:10], v[0:1], off
	global_load_b128 v[11:14], v[11:12], off
	s_waitcnt vmcnt(0)
	v_mul_f64 v[15:16], v[9:10], v[13:14]
	v_mul_f64 v[13:14], v[7:8], v[13:14]
	s_delay_alu instid0(VALU_DEP_2) | instskip(NEXT) | instid1(VALU_DEP_2)
	v_fma_f64 v[7:8], v[7:8], v[11:12], -v[15:16]
	v_fma_f64 v[9:10], v[9:10], v[11:12], v[13:14]
	v_mul_lo_u32 v13, v2, s9
	v_mad_u64_u32 v[11:12], null, v2, s8, 0
	v_mul_lo_u32 v14, v17, s8
	v_add_nc_u32_e32 v2, s1, v2
	s_delay_alu instid0(VALU_DEP_1) | instskip(NEXT) | instid1(VALU_DEP_3)
	v_cmp_le_i32_e32 vcc_lo, s3, v2
	v_add3_u32 v12, v12, v13, v14
	s_or_b32 s5, vcc_lo, s5
	s_delay_alu instid0(VALU_DEP_1) | instskip(NEXT) | instid1(VALU_DEP_1)
	v_lshlrev_b64 v[11:12], 4, v[11:12]
	v_add_co_u32 v11, s0, v5, v11
	s_delay_alu instid0(VALU_DEP_1)
	v_add_co_ci_u32_e64 v12, s0, v6, v12, s0
	global_store_b128 v[11:12], v[7:10], off
	s_and_not1_b32 exec_lo, exec_lo, s5
	s_cbranch_execnz .LBB29_2
.LBB29_3:
	s_set_inst_prefetch_distance 0x2
	s_nop 0
	s_sendmsg sendmsg(MSG_DEALLOC_VGPRS)
	s_endpgm
	.section	.rodata,"a",@progbits
	.p2align	6, 0x0
	.amdhsa_kernel _ZL19rocblas_dgmm_kernelILi16ELi16ELb0EPKPK19rocblas_complex_numIdEPKPS1_EviiT2_lllS9_lllT3_llli
		.amdhsa_group_segment_fixed_size 0
		.amdhsa_private_segment_fixed_size 0
		.amdhsa_kernarg_size 368
		.amdhsa_user_sgpr_count 13
		.amdhsa_user_sgpr_dispatch_ptr 0
		.amdhsa_user_sgpr_queue_ptr 0
		.amdhsa_user_sgpr_kernarg_segment_ptr 1
		.amdhsa_user_sgpr_dispatch_id 0
		.amdhsa_user_sgpr_private_segment_size 0
		.amdhsa_wavefront_size32 1
		.amdhsa_uses_dynamic_stack 0
		.amdhsa_enable_private_segment 0
		.amdhsa_system_sgpr_workgroup_id_x 1
		.amdhsa_system_sgpr_workgroup_id_y 1
		.amdhsa_system_sgpr_workgroup_id_z 1
		.amdhsa_system_sgpr_workgroup_info 0
		.amdhsa_system_vgpr_workitem_id 1
		.amdhsa_next_free_vgpr 18
		.amdhsa_next_free_sgpr 20
		.amdhsa_reserve_vcc 1
		.amdhsa_float_round_mode_32 0
		.amdhsa_float_round_mode_16_64 0
		.amdhsa_float_denorm_mode_32 3
		.amdhsa_float_denorm_mode_16_64 3
		.amdhsa_dx10_clamp 1
		.amdhsa_ieee_mode 1
		.amdhsa_fp16_overflow 0
		.amdhsa_workgroup_processor_mode 1
		.amdhsa_memory_ordered 1
		.amdhsa_forward_progress 0
		.amdhsa_shared_vgpr_count 0
		.amdhsa_exception_fp_ieee_invalid_op 0
		.amdhsa_exception_fp_denorm_src 0
		.amdhsa_exception_fp_ieee_div_zero 0
		.amdhsa_exception_fp_ieee_overflow 0
		.amdhsa_exception_fp_ieee_underflow 0
		.amdhsa_exception_fp_ieee_inexact 0
		.amdhsa_exception_int_div_zero 0
	.end_amdhsa_kernel
	.section	.text._ZL19rocblas_dgmm_kernelILi16ELi16ELb0EPKPK19rocblas_complex_numIdEPKPS1_EviiT2_lllS9_lllT3_llli,"axG",@progbits,_ZL19rocblas_dgmm_kernelILi16ELi16ELb0EPKPK19rocblas_complex_numIdEPKPS1_EviiT2_lllS9_lllT3_llli,comdat
.Lfunc_end29:
	.size	_ZL19rocblas_dgmm_kernelILi16ELi16ELb0EPKPK19rocblas_complex_numIdEPKPS1_EviiT2_lllS9_lllT3_llli, .Lfunc_end29-_ZL19rocblas_dgmm_kernelILi16ELi16ELb0EPKPK19rocblas_complex_numIdEPKPS1_EviiT2_lllS9_lllT3_llli
                                        ; -- End function
	.section	.AMDGPU.csdata,"",@progbits
; Kernel info:
; codeLenInByte = 592
; NumSgprs: 22
; NumVgprs: 18
; ScratchSize: 0
; MemoryBound: 0
; FloatMode: 240
; IeeeMode: 1
; LDSByteSize: 0 bytes/workgroup (compile time only)
; SGPRBlocks: 2
; VGPRBlocks: 2
; NumSGPRsForWavesPerEU: 22
; NumVGPRsForWavesPerEU: 18
; Occupancy: 16
; WaveLimiterHint : 1
; COMPUTE_PGM_RSRC2:SCRATCH_EN: 0
; COMPUTE_PGM_RSRC2:USER_SGPR: 13
; COMPUTE_PGM_RSRC2:TRAP_HANDLER: 0
; COMPUTE_PGM_RSRC2:TGID_X_EN: 1
; COMPUTE_PGM_RSRC2:TGID_Y_EN: 1
; COMPUTE_PGM_RSRC2:TGID_Z_EN: 1
; COMPUTE_PGM_RSRC2:TIDIG_COMP_CNT: 1
	.section	.text._ZL26rocblas_dgmm_gfx942_kernelILi32ELi32ELb1EPKPK19rocblas_complex_numIdEPKPS1_EviiT2_lllS9_lllT3_lll,"axG",@progbits,_ZL26rocblas_dgmm_gfx942_kernelILi32ELi32ELb1EPKPK19rocblas_complex_numIdEPKPS1_EviiT2_lllS9_lllT3_lll,comdat
	.globl	_ZL26rocblas_dgmm_gfx942_kernelILi32ELi32ELb1EPKPK19rocblas_complex_numIdEPKPS1_EviiT2_lllS9_lllT3_lll ; -- Begin function _ZL26rocblas_dgmm_gfx942_kernelILi32ELi32ELb1EPKPK19rocblas_complex_numIdEPKPS1_EviiT2_lllS9_lllT3_lll
	.p2align	8
	.type	_ZL26rocblas_dgmm_gfx942_kernelILi32ELi32ELb1EPKPK19rocblas_complex_numIdEPKPS1_EviiT2_lllS9_lllT3_lll,@function
_ZL26rocblas_dgmm_gfx942_kernelILi32ELi32ELb1EPKPK19rocblas_complex_numIdEPKPS1_EviiT2_lllS9_lllT3_lll: ; @_ZL26rocblas_dgmm_gfx942_kernelILi32ELi32ELb1EPKPK19rocblas_complex_numIdEPKPS1_EviiT2_lllS9_lllT3_lll
; %bb.0:
	s_endpgm
	.section	.rodata,"a",@progbits
	.p2align	6, 0x0
	.amdhsa_kernel _ZL26rocblas_dgmm_gfx942_kernelILi32ELi32ELb1EPKPK19rocblas_complex_numIdEPKPS1_EviiT2_lllS9_lllT3_lll
		.amdhsa_group_segment_fixed_size 0
		.amdhsa_private_segment_fixed_size 0
		.amdhsa_kernarg_size 104
		.amdhsa_user_sgpr_count 15
		.amdhsa_user_sgpr_dispatch_ptr 0
		.amdhsa_user_sgpr_queue_ptr 0
		.amdhsa_user_sgpr_kernarg_segment_ptr 1
		.amdhsa_user_sgpr_dispatch_id 0
		.amdhsa_user_sgpr_private_segment_size 0
		.amdhsa_wavefront_size32 1
		.amdhsa_uses_dynamic_stack 0
		.amdhsa_enable_private_segment 0
		.amdhsa_system_sgpr_workgroup_id_x 1
		.amdhsa_system_sgpr_workgroup_id_y 0
		.amdhsa_system_sgpr_workgroup_id_z 0
		.amdhsa_system_sgpr_workgroup_info 0
		.amdhsa_system_vgpr_workitem_id 0
		.amdhsa_next_free_vgpr 1
		.amdhsa_next_free_sgpr 1
		.amdhsa_reserve_vcc 0
		.amdhsa_float_round_mode_32 0
		.amdhsa_float_round_mode_16_64 0
		.amdhsa_float_denorm_mode_32 3
		.amdhsa_float_denorm_mode_16_64 3
		.amdhsa_dx10_clamp 1
		.amdhsa_ieee_mode 1
		.amdhsa_fp16_overflow 0
		.amdhsa_workgroup_processor_mode 1
		.amdhsa_memory_ordered 1
		.amdhsa_forward_progress 0
		.amdhsa_shared_vgpr_count 0
		.amdhsa_exception_fp_ieee_invalid_op 0
		.amdhsa_exception_fp_denorm_src 0
		.amdhsa_exception_fp_ieee_div_zero 0
		.amdhsa_exception_fp_ieee_overflow 0
		.amdhsa_exception_fp_ieee_underflow 0
		.amdhsa_exception_fp_ieee_inexact 0
		.amdhsa_exception_int_div_zero 0
	.end_amdhsa_kernel
	.section	.text._ZL26rocblas_dgmm_gfx942_kernelILi32ELi32ELb1EPKPK19rocblas_complex_numIdEPKPS1_EviiT2_lllS9_lllT3_lll,"axG",@progbits,_ZL26rocblas_dgmm_gfx942_kernelILi32ELi32ELb1EPKPK19rocblas_complex_numIdEPKPS1_EviiT2_lllS9_lllT3_lll,comdat
.Lfunc_end30:
	.size	_ZL26rocblas_dgmm_gfx942_kernelILi32ELi32ELb1EPKPK19rocblas_complex_numIdEPKPS1_EviiT2_lllS9_lllT3_lll, .Lfunc_end30-_ZL26rocblas_dgmm_gfx942_kernelILi32ELi32ELb1EPKPK19rocblas_complex_numIdEPKPS1_EviiT2_lllS9_lllT3_lll
                                        ; -- End function
	.section	.AMDGPU.csdata,"",@progbits
; Kernel info:
; codeLenInByte = 4
; NumSgprs: 0
; NumVgprs: 0
; ScratchSize: 0
; MemoryBound: 0
; FloatMode: 240
; IeeeMode: 1
; LDSByteSize: 0 bytes/workgroup (compile time only)
; SGPRBlocks: 0
; VGPRBlocks: 0
; NumSGPRsForWavesPerEU: 1
; NumVGPRsForWavesPerEU: 1
; Occupancy: 16
; WaveLimiterHint : 0
; COMPUTE_PGM_RSRC2:SCRATCH_EN: 0
; COMPUTE_PGM_RSRC2:USER_SGPR: 15
; COMPUTE_PGM_RSRC2:TRAP_HANDLER: 0
; COMPUTE_PGM_RSRC2:TGID_X_EN: 1
; COMPUTE_PGM_RSRC2:TGID_Y_EN: 0
; COMPUTE_PGM_RSRC2:TGID_Z_EN: 0
; COMPUTE_PGM_RSRC2:TIDIG_COMP_CNT: 0
	.section	.text._ZL19rocblas_dgmm_kernelILi16ELi16ELb1EPKPK19rocblas_complex_numIdEPKPS1_EviiT2_lllS9_lllT3_llli,"axG",@progbits,_ZL19rocblas_dgmm_kernelILi16ELi16ELb1EPKPK19rocblas_complex_numIdEPKPS1_EviiT2_lllS9_lllT3_llli,comdat
	.globl	_ZL19rocblas_dgmm_kernelILi16ELi16ELb1EPKPK19rocblas_complex_numIdEPKPS1_EviiT2_lllS9_lllT3_llli ; -- Begin function _ZL19rocblas_dgmm_kernelILi16ELi16ELb1EPKPK19rocblas_complex_numIdEPKPS1_EviiT2_lllS9_lllT3_llli
	.p2align	8
	.type	_ZL19rocblas_dgmm_kernelILi16ELi16ELb1EPKPK19rocblas_complex_numIdEPKPS1_EviiT2_lllS9_lllT3_llli,@function
_ZL19rocblas_dgmm_kernelILi16ELi16ELb1EPKPK19rocblas_complex_numIdEPKPS1_EviiT2_lllS9_lllT3_llli: ; @_ZL19rocblas_dgmm_kernelILi16ELi16ELb1EPKPK19rocblas_complex_numIdEPKPS1_EviiT2_lllS9_lllT3_llli
; %bb.0:
	s_load_b64 s[2:3], s[0:1], 0x0
	v_and_b32_e32 v1, 0x3ff, v0
	v_bfe_u32 v2, v0, 10, 10
	s_delay_alu instid0(VALU_DEP_2) | instskip(NEXT) | instid1(VALU_DEP_2)
	v_lshl_add_u32 v0, s13, 4, v1
	v_lshl_add_u32 v2, s14, 4, v2
	s_waitcnt lgkmcnt(0)
	s_delay_alu instid0(VALU_DEP_2) | instskip(NEXT) | instid1(VALU_DEP_2)
	v_cmp_gt_i32_e32 vcc_lo, s2, v0
	v_cmp_gt_i32_e64 s2, s3, v2
	s_delay_alu instid0(VALU_DEP_1) | instskip(NEXT) | instid1(SALU_CYCLE_1)
	s_and_b32 s2, vcc_lo, s2
	s_and_saveexec_b32 s5, s2
	s_cbranch_execz .LBB31_3
; %bb.1:
	s_clause 0x1
	s_load_b128 s[8:11], s[0:1], 0x8
	s_load_b64 s[6:7], s[0:1], 0x18
	s_mov_b32 s4, s15
	s_mov_b32 s5, 0
	v_ashrrev_i32_e32 v1, 31, v0
	s_lshl_b64 s[20:21], s[4:5], 3
	s_delay_alu instid0(VALU_DEP_1)
	v_lshlrev_b64 v[3:4], 4, v[0:1]
	s_waitcnt lgkmcnt(0)
	s_add_u32 s8, s8, s20
	s_addc_u32 s9, s9, s21
	s_lshl_b64 s[10:11], s[10:11], 4
	s_load_b64 s[16:17], s[8:9], 0x0
	s_clause 0x1
	s_load_b128 s[12:15], s[0:1], 0x28
	s_load_b64 s[8:9], s[0:1], 0x38
	s_waitcnt lgkmcnt(0)
	s_add_u32 s22, s16, s10
	s_addc_u32 s23, s17, s11
	s_add_u32 s10, s12, s20
	s_addc_u32 s11, s13, s21
	s_lshl_b64 s[12:13], s[14:15], 4
	s_load_b64 s[10:11], s[10:11], 0x0
	s_load_b128 s[16:19], s[0:1], 0x48
	v_add_co_u32 v0, vcc_lo, s22, v3
	v_add_co_ci_u32_e32 v1, vcc_lo, s23, v4, vcc_lo
	s_waitcnt lgkmcnt(0)
	s_add_u32 s2, s10, s12
	s_addc_u32 s4, s11, s13
	s_add_u32 s10, s16, s20
	s_addc_u32 s11, s17, s21
	s_load_b64 s[12:13], s[10:11], 0x0
	s_clause 0x1
	s_load_b32 s14, s[0:1], 0x74
	s_load_b64 s[10:11], s[0:1], 0x58
	s_lshl_b64 s[0:1], s[18:19], 4
	s_waitcnt lgkmcnt(0)
	s_add_u32 s0, s12, s0
	s_addc_u32 s1, s13, s1
	v_add_co_u32 v3, vcc_lo, s0, v3
	v_add_co_ci_u32_e32 v4, vcc_lo, s1, v4, vcc_lo
	s_lshl_b32 s1, s14, 4
.LBB31_2:                               ; =>This Inner Loop Header: Depth=1
	v_ashrrev_i32_e32 v15, 31, v2
	v_mul_lo_u32 v10, v2, s9
	v_mad_u64_u32 v[7:8], null, v2, s8, 0
	v_mul_lo_u32 v9, v2, s7
	s_delay_alu instid0(VALU_DEP_4) | instskip(SKIP_2) | instid1(VALU_DEP_3)
	v_mul_lo_u32 v11, v15, s8
	v_mad_u64_u32 v[5:6], null, v2, s6, 0
	v_mul_lo_u32 v12, v15, s6
	v_add3_u32 v8, v8, v10, v11
	s_delay_alu instid0(VALU_DEP_2) | instskip(NEXT) | instid1(VALU_DEP_2)
	v_add3_u32 v6, v6, v9, v12
	v_lshlrev_b64 v[7:8], 4, v[7:8]
	s_delay_alu instid0(VALU_DEP_2) | instskip(NEXT) | instid1(VALU_DEP_2)
	v_lshlrev_b64 v[5:6], 4, v[5:6]
	v_add_co_u32 v7, vcc_lo, s2, v7
	s_delay_alu instid0(VALU_DEP_3) | instskip(NEXT) | instid1(VALU_DEP_3)
	v_add_co_ci_u32_e32 v8, vcc_lo, s4, v8, vcc_lo
	v_add_co_u32 v9, vcc_lo, v0, v5
	s_delay_alu instid0(VALU_DEP_4)
	v_add_co_ci_u32_e32 v10, vcc_lo, v1, v6, vcc_lo
	global_load_b128 v[5:8], v[7:8], off
	global_load_b128 v[9:12], v[9:10], off
	s_waitcnt vmcnt(0)
	v_mul_f64 v[13:14], v[7:8], v[11:12]
	v_mul_f64 v[11:12], v[5:6], v[11:12]
	s_delay_alu instid0(VALU_DEP_2) | instskip(NEXT) | instid1(VALU_DEP_2)
	v_fma_f64 v[5:6], v[5:6], v[9:10], -v[13:14]
	v_fma_f64 v[7:8], v[7:8], v[9:10], v[11:12]
	v_mul_lo_u32 v11, v2, s11
	v_mad_u64_u32 v[9:10], null, v2, s10, 0
	v_mul_lo_u32 v12, v15, s10
	v_add_nc_u32_e32 v2, s1, v2
	s_delay_alu instid0(VALU_DEP_1) | instskip(NEXT) | instid1(VALU_DEP_3)
	v_cmp_le_i32_e32 vcc_lo, s3, v2
	v_add3_u32 v10, v10, v11, v12
	s_or_b32 s5, vcc_lo, s5
	s_delay_alu instid0(VALU_DEP_1) | instskip(NEXT) | instid1(VALU_DEP_1)
	v_lshlrev_b64 v[9:10], 4, v[9:10]
	v_add_co_u32 v9, s0, v3, v9
	s_delay_alu instid0(VALU_DEP_1)
	v_add_co_ci_u32_e64 v10, s0, v4, v10, s0
	global_store_b128 v[9:10], v[5:8], off
	s_and_not1_b32 exec_lo, exec_lo, s5
	s_cbranch_execnz .LBB31_2
.LBB31_3:
	s_nop 0
	s_sendmsg sendmsg(MSG_DEALLOC_VGPRS)
	s_endpgm
	.section	.rodata,"a",@progbits
	.p2align	6, 0x0
	.amdhsa_kernel _ZL19rocblas_dgmm_kernelILi16ELi16ELb1EPKPK19rocblas_complex_numIdEPKPS1_EviiT2_lllS9_lllT3_llli
		.amdhsa_group_segment_fixed_size 0
		.amdhsa_private_segment_fixed_size 0
		.amdhsa_kernarg_size 368
		.amdhsa_user_sgpr_count 13
		.amdhsa_user_sgpr_dispatch_ptr 0
		.amdhsa_user_sgpr_queue_ptr 0
		.amdhsa_user_sgpr_kernarg_segment_ptr 1
		.amdhsa_user_sgpr_dispatch_id 0
		.amdhsa_user_sgpr_private_segment_size 0
		.amdhsa_wavefront_size32 1
		.amdhsa_uses_dynamic_stack 0
		.amdhsa_enable_private_segment 0
		.amdhsa_system_sgpr_workgroup_id_x 1
		.amdhsa_system_sgpr_workgroup_id_y 1
		.amdhsa_system_sgpr_workgroup_id_z 1
		.amdhsa_system_sgpr_workgroup_info 0
		.amdhsa_system_vgpr_workitem_id 1
		.amdhsa_next_free_vgpr 16
		.amdhsa_next_free_sgpr 24
		.amdhsa_reserve_vcc 1
		.amdhsa_float_round_mode_32 0
		.amdhsa_float_round_mode_16_64 0
		.amdhsa_float_denorm_mode_32 3
		.amdhsa_float_denorm_mode_16_64 3
		.amdhsa_dx10_clamp 1
		.amdhsa_ieee_mode 1
		.amdhsa_fp16_overflow 0
		.amdhsa_workgroup_processor_mode 1
		.amdhsa_memory_ordered 1
		.amdhsa_forward_progress 0
		.amdhsa_shared_vgpr_count 0
		.amdhsa_exception_fp_ieee_invalid_op 0
		.amdhsa_exception_fp_denorm_src 0
		.amdhsa_exception_fp_ieee_div_zero 0
		.amdhsa_exception_fp_ieee_overflow 0
		.amdhsa_exception_fp_ieee_underflow 0
		.amdhsa_exception_fp_ieee_inexact 0
		.amdhsa_exception_int_div_zero 0
	.end_amdhsa_kernel
	.section	.text._ZL19rocblas_dgmm_kernelILi16ELi16ELb1EPKPK19rocblas_complex_numIdEPKPS1_EviiT2_lllS9_lllT3_llli,"axG",@progbits,_ZL19rocblas_dgmm_kernelILi16ELi16ELb1EPKPK19rocblas_complex_numIdEPKPS1_EviiT2_lllS9_lllT3_llli,comdat
.Lfunc_end31:
	.size	_ZL19rocblas_dgmm_kernelILi16ELi16ELb1EPKPK19rocblas_complex_numIdEPKPS1_EviiT2_lllS9_lllT3_llli, .Lfunc_end31-_ZL19rocblas_dgmm_kernelILi16ELi16ELb1EPKPK19rocblas_complex_numIdEPKPS1_EviiT2_lllS9_lllT3_llli
                                        ; -- End function
	.section	.AMDGPU.csdata,"",@progbits
; Kernel info:
; codeLenInByte = 596
; NumSgprs: 26
; NumVgprs: 16
; ScratchSize: 0
; MemoryBound: 0
; FloatMode: 240
; IeeeMode: 1
; LDSByteSize: 0 bytes/workgroup (compile time only)
; SGPRBlocks: 3
; VGPRBlocks: 1
; NumSGPRsForWavesPerEU: 26
; NumVGPRsForWavesPerEU: 16
; Occupancy: 16
; WaveLimiterHint : 1
; COMPUTE_PGM_RSRC2:SCRATCH_EN: 0
; COMPUTE_PGM_RSRC2:USER_SGPR: 13
; COMPUTE_PGM_RSRC2:TRAP_HANDLER: 0
; COMPUTE_PGM_RSRC2:TGID_X_EN: 1
; COMPUTE_PGM_RSRC2:TGID_Y_EN: 1
; COMPUTE_PGM_RSRC2:TGID_Z_EN: 1
; COMPUTE_PGM_RSRC2:TIDIG_COMP_CNT: 1
	.text
	.p2alignl 7, 3214868480
	.fill 96, 4, 3214868480
	.type	__hip_cuid_4a935d4563e0c208,@object ; @__hip_cuid_4a935d4563e0c208
	.section	.bss,"aw",@nobits
	.globl	__hip_cuid_4a935d4563e0c208
__hip_cuid_4a935d4563e0c208:
	.byte	0                               ; 0x0
	.size	__hip_cuid_4a935d4563e0c208, 1

	.ident	"AMD clang version 19.0.0git (https://github.com/RadeonOpenCompute/llvm-project roc-6.4.0 25133 c7fe45cf4b819c5991fe208aaa96edf142730f1d)"
	.section	".note.GNU-stack","",@progbits
	.addrsig
	.addrsig_sym __hip_cuid_4a935d4563e0c208
	.amdgpu_metadata
---
amdhsa.kernels:
  - .args:
      - .offset:         0
        .size:           4
        .value_kind:     by_value
      - .offset:         4
        .size:           4
        .value_kind:     by_value
      - .address_space:  global
        .offset:         8
        .size:           8
        .value_kind:     global_buffer
      - .offset:         16
        .size:           8
        .value_kind:     by_value
      - .offset:         24
        .size:           8
        .value_kind:     by_value
      - .offset:         32
        .size:           8
        .value_kind:     by_value
      - .address_space:  global
        .offset:         40
        .size:           8
        .value_kind:     global_buffer
      - .offset:         48
        .size:           8
        .value_kind:     by_value
      - .offset:         56
        .size:           8
        .value_kind:     by_value
      - .offset:         64
        .size:           8
        .value_kind:     by_value
      - .address_space:  global
        .offset:         72
        .size:           8
        .value_kind:     global_buffer
      - .offset:         80
        .size:           8
        .value_kind:     by_value
      - .offset:         88
        .size:           8
        .value_kind:     by_value
      - .offset:         96
        .size:           8
        .value_kind:     by_value
    .group_segment_fixed_size: 0
    .kernarg_segment_align: 8
    .kernarg_segment_size: 104
    .language:       OpenCL C
    .language_version:
      - 2
      - 0
    .max_flat_workgroup_size: 1024
    .name:           _ZL26rocblas_dgmm_gfx942_kernelILi32ELi32ELb0EPKfPfEviiT2_lllS3_lllT3_lll
    .private_segment_fixed_size: 0
    .sgpr_count:     0
    .sgpr_spill_count: 0
    .symbol:         _ZL26rocblas_dgmm_gfx942_kernelILi32ELi32ELb0EPKfPfEviiT2_lllS3_lllT3_lll.kd
    .uniform_work_group_size: 1
    .uses_dynamic_stack: false
    .vgpr_count:     0
    .vgpr_spill_count: 0
    .wavefront_size: 32
    .workgroup_processor_mode: 1
  - .args:
      - .offset:         0
        .size:           4
        .value_kind:     by_value
      - .offset:         4
        .size:           4
        .value_kind:     by_value
      - .address_space:  global
        .offset:         8
        .size:           8
        .value_kind:     global_buffer
      - .offset:         16
        .size:           8
        .value_kind:     by_value
      - .offset:         24
        .size:           8
        .value_kind:     by_value
      - .offset:         32
        .size:           8
        .value_kind:     by_value
      - .address_space:  global
        .offset:         40
        .size:           8
        .value_kind:     global_buffer
      - .offset:         48
        .size:           8
        .value_kind:     by_value
      - .offset:         56
        .size:           8
        .value_kind:     by_value
      - .offset:         64
        .size:           8
        .value_kind:     by_value
      - .address_space:  global
        .offset:         72
        .size:           8
        .value_kind:     global_buffer
      - .offset:         80
        .size:           8
        .value_kind:     by_value
      - .offset:         88
        .size:           8
        .value_kind:     by_value
      - .offset:         96
        .size:           8
        .value_kind:     by_value
      - .offset:         104
        .size:           4
        .value_kind:     by_value
      - .offset:         112
        .size:           4
        .value_kind:     hidden_block_count_x
      - .offset:         116
        .size:           4
        .value_kind:     hidden_block_count_y
      - .offset:         120
        .size:           4
        .value_kind:     hidden_block_count_z
      - .offset:         124
        .size:           2
        .value_kind:     hidden_group_size_x
      - .offset:         126
        .size:           2
        .value_kind:     hidden_group_size_y
      - .offset:         128
        .size:           2
        .value_kind:     hidden_group_size_z
      - .offset:         130
        .size:           2
        .value_kind:     hidden_remainder_x
      - .offset:         132
        .size:           2
        .value_kind:     hidden_remainder_y
      - .offset:         134
        .size:           2
        .value_kind:     hidden_remainder_z
      - .offset:         152
        .size:           8
        .value_kind:     hidden_global_offset_x
      - .offset:         160
        .size:           8
        .value_kind:     hidden_global_offset_y
      - .offset:         168
        .size:           8
        .value_kind:     hidden_global_offset_z
      - .offset:         176
        .size:           2
        .value_kind:     hidden_grid_dims
    .group_segment_fixed_size: 0
    .kernarg_segment_align: 8
    .kernarg_segment_size: 368
    .language:       OpenCL C
    .language_version:
      - 2
      - 0
    .max_flat_workgroup_size: 256
    .name:           _ZL19rocblas_dgmm_kernelILi16ELi16ELb0EPKfPfEviiT2_lllS3_lllT3_llli
    .private_segment_fixed_size: 0
    .sgpr_count:     34
    .sgpr_spill_count: 0
    .symbol:         _ZL19rocblas_dgmm_kernelILi16ELi16ELb0EPKfPfEviiT2_lllS3_lllT3_llli.kd
    .uniform_work_group_size: 1
    .uses_dynamic_stack: false
    .vgpr_count:     13
    .vgpr_spill_count: 0
    .wavefront_size: 32
    .workgroup_processor_mode: 1
  - .args:
      - .offset:         0
        .size:           4
        .value_kind:     by_value
      - .offset:         4
        .size:           4
        .value_kind:     by_value
      - .address_space:  global
        .offset:         8
        .size:           8
        .value_kind:     global_buffer
      - .offset:         16
        .size:           8
        .value_kind:     by_value
      - .offset:         24
        .size:           8
        .value_kind:     by_value
      - .offset:         32
        .size:           8
        .value_kind:     by_value
      - .address_space:  global
        .offset:         40
        .size:           8
        .value_kind:     global_buffer
      - .offset:         48
        .size:           8
        .value_kind:     by_value
      - .offset:         56
        .size:           8
        .value_kind:     by_value
      - .offset:         64
        .size:           8
        .value_kind:     by_value
      - .address_space:  global
        .offset:         72
        .size:           8
        .value_kind:     global_buffer
      - .offset:         80
        .size:           8
        .value_kind:     by_value
      - .offset:         88
        .size:           8
        .value_kind:     by_value
      - .offset:         96
        .size:           8
        .value_kind:     by_value
    .group_segment_fixed_size: 0
    .kernarg_segment_align: 8
    .kernarg_segment_size: 104
    .language:       OpenCL C
    .language_version:
      - 2
      - 0
    .max_flat_workgroup_size: 1024
    .name:           _ZL26rocblas_dgmm_gfx942_kernelILi32ELi32ELb1EPKfPfEviiT2_lllS3_lllT3_lll
    .private_segment_fixed_size: 0
    .sgpr_count:     0
    .sgpr_spill_count: 0
    .symbol:         _ZL26rocblas_dgmm_gfx942_kernelILi32ELi32ELb1EPKfPfEviiT2_lllS3_lllT3_lll.kd
    .uniform_work_group_size: 1
    .uses_dynamic_stack: false
    .vgpr_count:     0
    .vgpr_spill_count: 0
    .wavefront_size: 32
    .workgroup_processor_mode: 1
  - .args:
      - .offset:         0
        .size:           4
        .value_kind:     by_value
      - .offset:         4
        .size:           4
        .value_kind:     by_value
      - .address_space:  global
        .offset:         8
        .size:           8
        .value_kind:     global_buffer
      - .offset:         16
        .size:           8
        .value_kind:     by_value
      - .offset:         24
        .size:           8
        .value_kind:     by_value
      - .offset:         32
        .size:           8
        .value_kind:     by_value
      - .address_space:  global
        .offset:         40
        .size:           8
        .value_kind:     global_buffer
      - .offset:         48
        .size:           8
        .value_kind:     by_value
      - .offset:         56
        .size:           8
        .value_kind:     by_value
      - .offset:         64
        .size:           8
        .value_kind:     by_value
      - .address_space:  global
        .offset:         72
        .size:           8
        .value_kind:     global_buffer
      - .offset:         80
        .size:           8
        .value_kind:     by_value
      - .offset:         88
        .size:           8
        .value_kind:     by_value
      - .offset:         96
        .size:           8
        .value_kind:     by_value
      - .offset:         104
        .size:           4
        .value_kind:     by_value
      - .offset:         112
        .size:           4
        .value_kind:     hidden_block_count_x
      - .offset:         116
        .size:           4
        .value_kind:     hidden_block_count_y
      - .offset:         120
        .size:           4
        .value_kind:     hidden_block_count_z
      - .offset:         124
        .size:           2
        .value_kind:     hidden_group_size_x
      - .offset:         126
        .size:           2
        .value_kind:     hidden_group_size_y
      - .offset:         128
        .size:           2
        .value_kind:     hidden_group_size_z
      - .offset:         130
        .size:           2
        .value_kind:     hidden_remainder_x
      - .offset:         132
        .size:           2
        .value_kind:     hidden_remainder_y
      - .offset:         134
        .size:           2
        .value_kind:     hidden_remainder_z
      - .offset:         152
        .size:           8
        .value_kind:     hidden_global_offset_x
      - .offset:         160
        .size:           8
        .value_kind:     hidden_global_offset_y
      - .offset:         168
        .size:           8
        .value_kind:     hidden_global_offset_z
      - .offset:         176
        .size:           2
        .value_kind:     hidden_grid_dims
    .group_segment_fixed_size: 0
    .kernarg_segment_align: 8
    .kernarg_segment_size: 368
    .language:       OpenCL C
    .language_version:
      - 2
      - 0
    .max_flat_workgroup_size: 256
    .name:           _ZL19rocblas_dgmm_kernelILi16ELi16ELb1EPKfPfEviiT2_lllS3_lllT3_llli
    .private_segment_fixed_size: 0
    .sgpr_count:     34
    .sgpr_spill_count: 0
    .symbol:         _ZL19rocblas_dgmm_kernelILi16ELi16ELb1EPKfPfEviiT2_lllS3_lllT3_llli.kd
    .uniform_work_group_size: 1
    .uses_dynamic_stack: false
    .vgpr_count:     14
    .vgpr_spill_count: 0
    .wavefront_size: 32
    .workgroup_processor_mode: 1
  - .args:
      - .offset:         0
        .size:           4
        .value_kind:     by_value
      - .offset:         4
        .size:           4
        .value_kind:     by_value
      - .address_space:  global
        .offset:         8
        .size:           8
        .value_kind:     global_buffer
      - .offset:         16
        .size:           8
        .value_kind:     by_value
      - .offset:         24
        .size:           8
        .value_kind:     by_value
      - .offset:         32
        .size:           8
        .value_kind:     by_value
      - .address_space:  global
        .offset:         40
        .size:           8
        .value_kind:     global_buffer
      - .offset:         48
        .size:           8
        .value_kind:     by_value
      - .offset:         56
        .size:           8
        .value_kind:     by_value
      - .offset:         64
        .size:           8
        .value_kind:     by_value
      - .address_space:  global
        .offset:         72
        .size:           8
        .value_kind:     global_buffer
      - .offset:         80
        .size:           8
        .value_kind:     by_value
      - .offset:         88
        .size:           8
        .value_kind:     by_value
      - .offset:         96
        .size:           8
        .value_kind:     by_value
    .group_segment_fixed_size: 0
    .kernarg_segment_align: 8
    .kernarg_segment_size: 104
    .language:       OpenCL C
    .language_version:
      - 2
      - 0
    .max_flat_workgroup_size: 1024
    .name:           _ZL26rocblas_dgmm_gfx942_kernelILi32ELi32ELb0EPKdPdEviiT2_lllS3_lllT3_lll
    .private_segment_fixed_size: 0
    .sgpr_count:     0
    .sgpr_spill_count: 0
    .symbol:         _ZL26rocblas_dgmm_gfx942_kernelILi32ELi32ELb0EPKdPdEviiT2_lllS3_lllT3_lll.kd
    .uniform_work_group_size: 1
    .uses_dynamic_stack: false
    .vgpr_count:     0
    .vgpr_spill_count: 0
    .wavefront_size: 32
    .workgroup_processor_mode: 1
  - .args:
      - .offset:         0
        .size:           4
        .value_kind:     by_value
      - .offset:         4
        .size:           4
        .value_kind:     by_value
      - .address_space:  global
        .offset:         8
        .size:           8
        .value_kind:     global_buffer
      - .offset:         16
        .size:           8
        .value_kind:     by_value
      - .offset:         24
        .size:           8
        .value_kind:     by_value
      - .offset:         32
        .size:           8
        .value_kind:     by_value
      - .address_space:  global
        .offset:         40
        .size:           8
        .value_kind:     global_buffer
      - .offset:         48
        .size:           8
        .value_kind:     by_value
      - .offset:         56
        .size:           8
        .value_kind:     by_value
      - .offset:         64
        .size:           8
        .value_kind:     by_value
      - .address_space:  global
        .offset:         72
        .size:           8
        .value_kind:     global_buffer
      - .offset:         80
        .size:           8
        .value_kind:     by_value
      - .offset:         88
        .size:           8
        .value_kind:     by_value
      - .offset:         96
        .size:           8
        .value_kind:     by_value
      - .offset:         104
        .size:           4
        .value_kind:     by_value
      - .offset:         112
        .size:           4
        .value_kind:     hidden_block_count_x
      - .offset:         116
        .size:           4
        .value_kind:     hidden_block_count_y
      - .offset:         120
        .size:           4
        .value_kind:     hidden_block_count_z
      - .offset:         124
        .size:           2
        .value_kind:     hidden_group_size_x
      - .offset:         126
        .size:           2
        .value_kind:     hidden_group_size_y
      - .offset:         128
        .size:           2
        .value_kind:     hidden_group_size_z
      - .offset:         130
        .size:           2
        .value_kind:     hidden_remainder_x
      - .offset:         132
        .size:           2
        .value_kind:     hidden_remainder_y
      - .offset:         134
        .size:           2
        .value_kind:     hidden_remainder_z
      - .offset:         152
        .size:           8
        .value_kind:     hidden_global_offset_x
      - .offset:         160
        .size:           8
        .value_kind:     hidden_global_offset_y
      - .offset:         168
        .size:           8
        .value_kind:     hidden_global_offset_z
      - .offset:         176
        .size:           2
        .value_kind:     hidden_grid_dims
    .group_segment_fixed_size: 0
    .kernarg_segment_align: 8
    .kernarg_segment_size: 368
    .language:       OpenCL C
    .language_version:
      - 2
      - 0
    .max_flat_workgroup_size: 256
    .name:           _ZL19rocblas_dgmm_kernelILi16ELi16ELb0EPKdPdEviiT2_lllS3_lllT3_llli
    .private_segment_fixed_size: 0
    .sgpr_count:     34
    .sgpr_spill_count: 0
    .symbol:         _ZL19rocblas_dgmm_kernelILi16ELi16ELb0EPKdPdEviiT2_lllS3_lllT3_llli.kd
    .uniform_work_group_size: 1
    .uses_dynamic_stack: false
    .vgpr_count:     13
    .vgpr_spill_count: 0
    .wavefront_size: 32
    .workgroup_processor_mode: 1
  - .args:
      - .offset:         0
        .size:           4
        .value_kind:     by_value
      - .offset:         4
        .size:           4
        .value_kind:     by_value
      - .address_space:  global
        .offset:         8
        .size:           8
        .value_kind:     global_buffer
      - .offset:         16
        .size:           8
        .value_kind:     by_value
      - .offset:         24
        .size:           8
        .value_kind:     by_value
      - .offset:         32
        .size:           8
        .value_kind:     by_value
      - .address_space:  global
        .offset:         40
        .size:           8
        .value_kind:     global_buffer
      - .offset:         48
        .size:           8
        .value_kind:     by_value
      - .offset:         56
        .size:           8
        .value_kind:     by_value
      - .offset:         64
        .size:           8
        .value_kind:     by_value
      - .address_space:  global
        .offset:         72
        .size:           8
        .value_kind:     global_buffer
      - .offset:         80
        .size:           8
        .value_kind:     by_value
      - .offset:         88
        .size:           8
        .value_kind:     by_value
      - .offset:         96
        .size:           8
        .value_kind:     by_value
    .group_segment_fixed_size: 0
    .kernarg_segment_align: 8
    .kernarg_segment_size: 104
    .language:       OpenCL C
    .language_version:
      - 2
      - 0
    .max_flat_workgroup_size: 1024
    .name:           _ZL26rocblas_dgmm_gfx942_kernelILi32ELi32ELb1EPKdPdEviiT2_lllS3_lllT3_lll
    .private_segment_fixed_size: 0
    .sgpr_count:     0
    .sgpr_spill_count: 0
    .symbol:         _ZL26rocblas_dgmm_gfx942_kernelILi32ELi32ELb1EPKdPdEviiT2_lllS3_lllT3_lll.kd
    .uniform_work_group_size: 1
    .uses_dynamic_stack: false
    .vgpr_count:     0
    .vgpr_spill_count: 0
    .wavefront_size: 32
    .workgroup_processor_mode: 1
  - .args:
      - .offset:         0
        .size:           4
        .value_kind:     by_value
      - .offset:         4
        .size:           4
        .value_kind:     by_value
      - .address_space:  global
        .offset:         8
        .size:           8
        .value_kind:     global_buffer
      - .offset:         16
        .size:           8
        .value_kind:     by_value
      - .offset:         24
        .size:           8
        .value_kind:     by_value
      - .offset:         32
        .size:           8
        .value_kind:     by_value
      - .address_space:  global
        .offset:         40
        .size:           8
        .value_kind:     global_buffer
      - .offset:         48
        .size:           8
        .value_kind:     by_value
      - .offset:         56
        .size:           8
        .value_kind:     by_value
      - .offset:         64
        .size:           8
        .value_kind:     by_value
      - .address_space:  global
        .offset:         72
        .size:           8
        .value_kind:     global_buffer
      - .offset:         80
        .size:           8
        .value_kind:     by_value
      - .offset:         88
        .size:           8
        .value_kind:     by_value
      - .offset:         96
        .size:           8
        .value_kind:     by_value
      - .offset:         104
        .size:           4
        .value_kind:     by_value
      - .offset:         112
        .size:           4
        .value_kind:     hidden_block_count_x
      - .offset:         116
        .size:           4
        .value_kind:     hidden_block_count_y
      - .offset:         120
        .size:           4
        .value_kind:     hidden_block_count_z
      - .offset:         124
        .size:           2
        .value_kind:     hidden_group_size_x
      - .offset:         126
        .size:           2
        .value_kind:     hidden_group_size_y
      - .offset:         128
        .size:           2
        .value_kind:     hidden_group_size_z
      - .offset:         130
        .size:           2
        .value_kind:     hidden_remainder_x
      - .offset:         132
        .size:           2
        .value_kind:     hidden_remainder_y
      - .offset:         134
        .size:           2
        .value_kind:     hidden_remainder_z
      - .offset:         152
        .size:           8
        .value_kind:     hidden_global_offset_x
      - .offset:         160
        .size:           8
        .value_kind:     hidden_global_offset_y
      - .offset:         168
        .size:           8
        .value_kind:     hidden_global_offset_z
      - .offset:         176
        .size:           2
        .value_kind:     hidden_grid_dims
    .group_segment_fixed_size: 0
    .kernarg_segment_align: 8
    .kernarg_segment_size: 368
    .language:       OpenCL C
    .language_version:
      - 2
      - 0
    .max_flat_workgroup_size: 256
    .name:           _ZL19rocblas_dgmm_kernelILi16ELi16ELb1EPKdPdEviiT2_lllS3_lllT3_llli
    .private_segment_fixed_size: 0
    .sgpr_count:     34
    .sgpr_spill_count: 0
    .symbol:         _ZL19rocblas_dgmm_kernelILi16ELi16ELb1EPKdPdEviiT2_lllS3_lllT3_llli.kd
    .uniform_work_group_size: 1
    .uses_dynamic_stack: false
    .vgpr_count:     14
    .vgpr_spill_count: 0
    .wavefront_size: 32
    .workgroup_processor_mode: 1
  - .args:
      - .offset:         0
        .size:           4
        .value_kind:     by_value
      - .offset:         4
        .size:           4
        .value_kind:     by_value
      - .address_space:  global
        .offset:         8
        .size:           8
        .value_kind:     global_buffer
      - .offset:         16
        .size:           8
        .value_kind:     by_value
      - .offset:         24
        .size:           8
        .value_kind:     by_value
      - .offset:         32
        .size:           8
        .value_kind:     by_value
      - .address_space:  global
        .offset:         40
        .size:           8
        .value_kind:     global_buffer
      - .offset:         48
        .size:           8
        .value_kind:     by_value
      - .offset:         56
        .size:           8
        .value_kind:     by_value
      - .offset:         64
        .size:           8
        .value_kind:     by_value
      - .address_space:  global
        .offset:         72
        .size:           8
        .value_kind:     global_buffer
      - .offset:         80
        .size:           8
        .value_kind:     by_value
      - .offset:         88
        .size:           8
        .value_kind:     by_value
      - .offset:         96
        .size:           8
        .value_kind:     by_value
    .group_segment_fixed_size: 0
    .kernarg_segment_align: 8
    .kernarg_segment_size: 104
    .language:       OpenCL C
    .language_version:
      - 2
      - 0
    .max_flat_workgroup_size: 1024
    .name:           _ZL26rocblas_dgmm_gfx942_kernelILi32ELi32ELb0EPK19rocblas_complex_numIfEPS1_EviiT2_lllS5_lllT3_lll
    .private_segment_fixed_size: 0
    .sgpr_count:     0
    .sgpr_spill_count: 0
    .symbol:         _ZL26rocblas_dgmm_gfx942_kernelILi32ELi32ELb0EPK19rocblas_complex_numIfEPS1_EviiT2_lllS5_lllT3_lll.kd
    .uniform_work_group_size: 1
    .uses_dynamic_stack: false
    .vgpr_count:     0
    .vgpr_spill_count: 0
    .wavefront_size: 32
    .workgroup_processor_mode: 1
  - .args:
      - .offset:         0
        .size:           4
        .value_kind:     by_value
      - .offset:         4
        .size:           4
        .value_kind:     by_value
      - .address_space:  global
        .offset:         8
        .size:           8
        .value_kind:     global_buffer
      - .offset:         16
        .size:           8
        .value_kind:     by_value
      - .offset:         24
        .size:           8
        .value_kind:     by_value
      - .offset:         32
        .size:           8
        .value_kind:     by_value
      - .address_space:  global
        .offset:         40
        .size:           8
        .value_kind:     global_buffer
      - .offset:         48
        .size:           8
        .value_kind:     by_value
      - .offset:         56
        .size:           8
        .value_kind:     by_value
      - .offset:         64
        .size:           8
        .value_kind:     by_value
      - .address_space:  global
        .offset:         72
        .size:           8
        .value_kind:     global_buffer
      - .offset:         80
        .size:           8
        .value_kind:     by_value
      - .offset:         88
        .size:           8
        .value_kind:     by_value
      - .offset:         96
        .size:           8
        .value_kind:     by_value
      - .offset:         104
        .size:           4
        .value_kind:     by_value
      - .offset:         112
        .size:           4
        .value_kind:     hidden_block_count_x
      - .offset:         116
        .size:           4
        .value_kind:     hidden_block_count_y
      - .offset:         120
        .size:           4
        .value_kind:     hidden_block_count_z
      - .offset:         124
        .size:           2
        .value_kind:     hidden_group_size_x
      - .offset:         126
        .size:           2
        .value_kind:     hidden_group_size_y
      - .offset:         128
        .size:           2
        .value_kind:     hidden_group_size_z
      - .offset:         130
        .size:           2
        .value_kind:     hidden_remainder_x
      - .offset:         132
        .size:           2
        .value_kind:     hidden_remainder_y
      - .offset:         134
        .size:           2
        .value_kind:     hidden_remainder_z
      - .offset:         152
        .size:           8
        .value_kind:     hidden_global_offset_x
      - .offset:         160
        .size:           8
        .value_kind:     hidden_global_offset_y
      - .offset:         168
        .size:           8
        .value_kind:     hidden_global_offset_z
      - .offset:         176
        .size:           2
        .value_kind:     hidden_grid_dims
    .group_segment_fixed_size: 0
    .kernarg_segment_align: 8
    .kernarg_segment_size: 368
    .language:       OpenCL C
    .language_version:
      - 2
      - 0
    .max_flat_workgroup_size: 256
    .name:           _ZL19rocblas_dgmm_kernelILi16ELi16ELb0EPK19rocblas_complex_numIfEPS1_EviiT2_lllS5_lllT3_llli
    .private_segment_fixed_size: 0
    .sgpr_count:     34
    .sgpr_spill_count: 0
    .symbol:         _ZL19rocblas_dgmm_kernelILi16ELi16ELb0EPK19rocblas_complex_numIfEPS1_EviiT2_lllS5_lllT3_llli.kd
    .uniform_work_group_size: 1
    .uses_dynamic_stack: false
    .vgpr_count:     17
    .vgpr_spill_count: 0
    .wavefront_size: 32
    .workgroup_processor_mode: 1
  - .args:
      - .offset:         0
        .size:           4
        .value_kind:     by_value
      - .offset:         4
        .size:           4
        .value_kind:     by_value
      - .address_space:  global
        .offset:         8
        .size:           8
        .value_kind:     global_buffer
      - .offset:         16
        .size:           8
        .value_kind:     by_value
      - .offset:         24
        .size:           8
        .value_kind:     by_value
      - .offset:         32
        .size:           8
        .value_kind:     by_value
      - .address_space:  global
        .offset:         40
        .size:           8
        .value_kind:     global_buffer
      - .offset:         48
        .size:           8
        .value_kind:     by_value
      - .offset:         56
        .size:           8
        .value_kind:     by_value
      - .offset:         64
        .size:           8
        .value_kind:     by_value
      - .address_space:  global
        .offset:         72
        .size:           8
        .value_kind:     global_buffer
      - .offset:         80
        .size:           8
        .value_kind:     by_value
      - .offset:         88
        .size:           8
        .value_kind:     by_value
      - .offset:         96
        .size:           8
        .value_kind:     by_value
    .group_segment_fixed_size: 0
    .kernarg_segment_align: 8
    .kernarg_segment_size: 104
    .language:       OpenCL C
    .language_version:
      - 2
      - 0
    .max_flat_workgroup_size: 1024
    .name:           _ZL26rocblas_dgmm_gfx942_kernelILi32ELi32ELb1EPK19rocblas_complex_numIfEPS1_EviiT2_lllS5_lllT3_lll
    .private_segment_fixed_size: 0
    .sgpr_count:     0
    .sgpr_spill_count: 0
    .symbol:         _ZL26rocblas_dgmm_gfx942_kernelILi32ELi32ELb1EPK19rocblas_complex_numIfEPS1_EviiT2_lllS5_lllT3_lll.kd
    .uniform_work_group_size: 1
    .uses_dynamic_stack: false
    .vgpr_count:     0
    .vgpr_spill_count: 0
    .wavefront_size: 32
    .workgroup_processor_mode: 1
  - .args:
      - .offset:         0
        .size:           4
        .value_kind:     by_value
      - .offset:         4
        .size:           4
        .value_kind:     by_value
      - .address_space:  global
        .offset:         8
        .size:           8
        .value_kind:     global_buffer
      - .offset:         16
        .size:           8
        .value_kind:     by_value
      - .offset:         24
        .size:           8
        .value_kind:     by_value
      - .offset:         32
        .size:           8
        .value_kind:     by_value
      - .address_space:  global
        .offset:         40
        .size:           8
        .value_kind:     global_buffer
      - .offset:         48
        .size:           8
        .value_kind:     by_value
      - .offset:         56
        .size:           8
        .value_kind:     by_value
      - .offset:         64
        .size:           8
        .value_kind:     by_value
      - .address_space:  global
        .offset:         72
        .size:           8
        .value_kind:     global_buffer
      - .offset:         80
        .size:           8
        .value_kind:     by_value
      - .offset:         88
        .size:           8
        .value_kind:     by_value
      - .offset:         96
        .size:           8
        .value_kind:     by_value
      - .offset:         104
        .size:           4
        .value_kind:     by_value
      - .offset:         112
        .size:           4
        .value_kind:     hidden_block_count_x
      - .offset:         116
        .size:           4
        .value_kind:     hidden_block_count_y
      - .offset:         120
        .size:           4
        .value_kind:     hidden_block_count_z
      - .offset:         124
        .size:           2
        .value_kind:     hidden_group_size_x
      - .offset:         126
        .size:           2
        .value_kind:     hidden_group_size_y
      - .offset:         128
        .size:           2
        .value_kind:     hidden_group_size_z
      - .offset:         130
        .size:           2
        .value_kind:     hidden_remainder_x
      - .offset:         132
        .size:           2
        .value_kind:     hidden_remainder_y
      - .offset:         134
        .size:           2
        .value_kind:     hidden_remainder_z
      - .offset:         152
        .size:           8
        .value_kind:     hidden_global_offset_x
      - .offset:         160
        .size:           8
        .value_kind:     hidden_global_offset_y
      - .offset:         168
        .size:           8
        .value_kind:     hidden_global_offset_z
      - .offset:         176
        .size:           2
        .value_kind:     hidden_grid_dims
    .group_segment_fixed_size: 0
    .kernarg_segment_align: 8
    .kernarg_segment_size: 368
    .language:       OpenCL C
    .language_version:
      - 2
      - 0
    .max_flat_workgroup_size: 256
    .name:           _ZL19rocblas_dgmm_kernelILi16ELi16ELb1EPK19rocblas_complex_numIfEPS1_EviiT2_lllS5_lllT3_llli
    .private_segment_fixed_size: 0
    .sgpr_count:     34
    .sgpr_spill_count: 0
    .symbol:         _ZL19rocblas_dgmm_kernelILi16ELi16ELb1EPK19rocblas_complex_numIfEPS1_EviiT2_lllS5_lllT3_llli.kd
    .uniform_work_group_size: 1
    .uses_dynamic_stack: false
    .vgpr_count:     15
    .vgpr_spill_count: 0
    .wavefront_size: 32
    .workgroup_processor_mode: 1
  - .args:
      - .offset:         0
        .size:           4
        .value_kind:     by_value
      - .offset:         4
        .size:           4
        .value_kind:     by_value
      - .address_space:  global
        .offset:         8
        .size:           8
        .value_kind:     global_buffer
      - .offset:         16
        .size:           8
        .value_kind:     by_value
      - .offset:         24
        .size:           8
        .value_kind:     by_value
      - .offset:         32
        .size:           8
        .value_kind:     by_value
      - .address_space:  global
        .offset:         40
        .size:           8
        .value_kind:     global_buffer
      - .offset:         48
        .size:           8
        .value_kind:     by_value
      - .offset:         56
        .size:           8
        .value_kind:     by_value
      - .offset:         64
        .size:           8
        .value_kind:     by_value
      - .address_space:  global
        .offset:         72
        .size:           8
        .value_kind:     global_buffer
      - .offset:         80
        .size:           8
        .value_kind:     by_value
      - .offset:         88
        .size:           8
        .value_kind:     by_value
      - .offset:         96
        .size:           8
        .value_kind:     by_value
    .group_segment_fixed_size: 0
    .kernarg_segment_align: 8
    .kernarg_segment_size: 104
    .language:       OpenCL C
    .language_version:
      - 2
      - 0
    .max_flat_workgroup_size: 1024
    .name:           _ZL26rocblas_dgmm_gfx942_kernelILi32ELi32ELb0EPK19rocblas_complex_numIdEPS1_EviiT2_lllS5_lllT3_lll
    .private_segment_fixed_size: 0
    .sgpr_count:     0
    .sgpr_spill_count: 0
    .symbol:         _ZL26rocblas_dgmm_gfx942_kernelILi32ELi32ELb0EPK19rocblas_complex_numIdEPS1_EviiT2_lllS5_lllT3_lll.kd
    .uniform_work_group_size: 1
    .uses_dynamic_stack: false
    .vgpr_count:     0
    .vgpr_spill_count: 0
    .wavefront_size: 32
    .workgroup_processor_mode: 1
  - .args:
      - .offset:         0
        .size:           4
        .value_kind:     by_value
      - .offset:         4
        .size:           4
        .value_kind:     by_value
      - .address_space:  global
        .offset:         8
        .size:           8
        .value_kind:     global_buffer
      - .offset:         16
        .size:           8
        .value_kind:     by_value
      - .offset:         24
        .size:           8
        .value_kind:     by_value
      - .offset:         32
        .size:           8
        .value_kind:     by_value
      - .address_space:  global
        .offset:         40
        .size:           8
        .value_kind:     global_buffer
      - .offset:         48
        .size:           8
        .value_kind:     by_value
      - .offset:         56
        .size:           8
        .value_kind:     by_value
      - .offset:         64
        .size:           8
        .value_kind:     by_value
      - .address_space:  global
        .offset:         72
        .size:           8
        .value_kind:     global_buffer
      - .offset:         80
        .size:           8
        .value_kind:     by_value
      - .offset:         88
        .size:           8
        .value_kind:     by_value
      - .offset:         96
        .size:           8
        .value_kind:     by_value
      - .offset:         104
        .size:           4
        .value_kind:     by_value
      - .offset:         112
        .size:           4
        .value_kind:     hidden_block_count_x
      - .offset:         116
        .size:           4
        .value_kind:     hidden_block_count_y
      - .offset:         120
        .size:           4
        .value_kind:     hidden_block_count_z
      - .offset:         124
        .size:           2
        .value_kind:     hidden_group_size_x
      - .offset:         126
        .size:           2
        .value_kind:     hidden_group_size_y
      - .offset:         128
        .size:           2
        .value_kind:     hidden_group_size_z
      - .offset:         130
        .size:           2
        .value_kind:     hidden_remainder_x
      - .offset:         132
        .size:           2
        .value_kind:     hidden_remainder_y
      - .offset:         134
        .size:           2
        .value_kind:     hidden_remainder_z
      - .offset:         152
        .size:           8
        .value_kind:     hidden_global_offset_x
      - .offset:         160
        .size:           8
        .value_kind:     hidden_global_offset_y
      - .offset:         168
        .size:           8
        .value_kind:     hidden_global_offset_z
      - .offset:         176
        .size:           2
        .value_kind:     hidden_grid_dims
    .group_segment_fixed_size: 0
    .kernarg_segment_align: 8
    .kernarg_segment_size: 368
    .language:       OpenCL C
    .language_version:
      - 2
      - 0
    .max_flat_workgroup_size: 256
    .name:           _ZL19rocblas_dgmm_kernelILi16ELi16ELb0EPK19rocblas_complex_numIdEPS1_EviiT2_lllS5_lllT3_llli
    .private_segment_fixed_size: 0
    .sgpr_count:     34
    .sgpr_spill_count: 0
    .symbol:         _ZL19rocblas_dgmm_kernelILi16ELi16ELb0EPK19rocblas_complex_numIdEPS1_EviiT2_lllS5_lllT3_llli.kd
    .uniform_work_group_size: 1
    .uses_dynamic_stack: false
    .vgpr_count:     18
    .vgpr_spill_count: 0
    .wavefront_size: 32
    .workgroup_processor_mode: 1
  - .args:
      - .offset:         0
        .size:           4
        .value_kind:     by_value
      - .offset:         4
        .size:           4
        .value_kind:     by_value
      - .address_space:  global
        .offset:         8
        .size:           8
        .value_kind:     global_buffer
      - .offset:         16
        .size:           8
        .value_kind:     by_value
      - .offset:         24
        .size:           8
        .value_kind:     by_value
      - .offset:         32
        .size:           8
        .value_kind:     by_value
      - .address_space:  global
        .offset:         40
        .size:           8
        .value_kind:     global_buffer
      - .offset:         48
        .size:           8
        .value_kind:     by_value
      - .offset:         56
        .size:           8
        .value_kind:     by_value
      - .offset:         64
        .size:           8
        .value_kind:     by_value
      - .address_space:  global
        .offset:         72
        .size:           8
        .value_kind:     global_buffer
      - .offset:         80
        .size:           8
        .value_kind:     by_value
      - .offset:         88
        .size:           8
        .value_kind:     by_value
      - .offset:         96
        .size:           8
        .value_kind:     by_value
    .group_segment_fixed_size: 0
    .kernarg_segment_align: 8
    .kernarg_segment_size: 104
    .language:       OpenCL C
    .language_version:
      - 2
      - 0
    .max_flat_workgroup_size: 1024
    .name:           _ZL26rocblas_dgmm_gfx942_kernelILi32ELi32ELb1EPK19rocblas_complex_numIdEPS1_EviiT2_lllS5_lllT3_lll
    .private_segment_fixed_size: 0
    .sgpr_count:     0
    .sgpr_spill_count: 0
    .symbol:         _ZL26rocblas_dgmm_gfx942_kernelILi32ELi32ELb1EPK19rocblas_complex_numIdEPS1_EviiT2_lllS5_lllT3_lll.kd
    .uniform_work_group_size: 1
    .uses_dynamic_stack: false
    .vgpr_count:     0
    .vgpr_spill_count: 0
    .wavefront_size: 32
    .workgroup_processor_mode: 1
  - .args:
      - .offset:         0
        .size:           4
        .value_kind:     by_value
      - .offset:         4
        .size:           4
        .value_kind:     by_value
      - .address_space:  global
        .offset:         8
        .size:           8
        .value_kind:     global_buffer
      - .offset:         16
        .size:           8
        .value_kind:     by_value
      - .offset:         24
        .size:           8
        .value_kind:     by_value
      - .offset:         32
        .size:           8
        .value_kind:     by_value
      - .address_space:  global
        .offset:         40
        .size:           8
        .value_kind:     global_buffer
      - .offset:         48
        .size:           8
        .value_kind:     by_value
      - .offset:         56
        .size:           8
        .value_kind:     by_value
      - .offset:         64
        .size:           8
        .value_kind:     by_value
      - .address_space:  global
        .offset:         72
        .size:           8
        .value_kind:     global_buffer
      - .offset:         80
        .size:           8
        .value_kind:     by_value
      - .offset:         88
        .size:           8
        .value_kind:     by_value
      - .offset:         96
        .size:           8
        .value_kind:     by_value
      - .offset:         104
        .size:           4
        .value_kind:     by_value
      - .offset:         112
        .size:           4
        .value_kind:     hidden_block_count_x
      - .offset:         116
        .size:           4
        .value_kind:     hidden_block_count_y
      - .offset:         120
        .size:           4
        .value_kind:     hidden_block_count_z
      - .offset:         124
        .size:           2
        .value_kind:     hidden_group_size_x
      - .offset:         126
        .size:           2
        .value_kind:     hidden_group_size_y
      - .offset:         128
        .size:           2
        .value_kind:     hidden_group_size_z
      - .offset:         130
        .size:           2
        .value_kind:     hidden_remainder_x
      - .offset:         132
        .size:           2
        .value_kind:     hidden_remainder_y
      - .offset:         134
        .size:           2
        .value_kind:     hidden_remainder_z
      - .offset:         152
        .size:           8
        .value_kind:     hidden_global_offset_x
      - .offset:         160
        .size:           8
        .value_kind:     hidden_global_offset_y
      - .offset:         168
        .size:           8
        .value_kind:     hidden_global_offset_z
      - .offset:         176
        .size:           2
        .value_kind:     hidden_grid_dims
    .group_segment_fixed_size: 0
    .kernarg_segment_align: 8
    .kernarg_segment_size: 368
    .language:       OpenCL C
    .language_version:
      - 2
      - 0
    .max_flat_workgroup_size: 256
    .name:           _ZL19rocblas_dgmm_kernelILi16ELi16ELb1EPK19rocblas_complex_numIdEPS1_EviiT2_lllS5_lllT3_llli
    .private_segment_fixed_size: 0
    .sgpr_count:     34
    .sgpr_spill_count: 0
    .symbol:         _ZL19rocblas_dgmm_kernelILi16ELi16ELb1EPK19rocblas_complex_numIdEPS1_EviiT2_lllS5_lllT3_llli.kd
    .uniform_work_group_size: 1
    .uses_dynamic_stack: false
    .vgpr_count:     16
    .vgpr_spill_count: 0
    .wavefront_size: 32
    .workgroup_processor_mode: 1
  - .args:
      - .offset:         0
        .size:           4
        .value_kind:     by_value
      - .offset:         4
        .size:           4
        .value_kind:     by_value
      - .address_space:  global
        .offset:         8
        .size:           8
        .value_kind:     global_buffer
      - .offset:         16
        .size:           8
        .value_kind:     by_value
      - .offset:         24
        .size:           8
        .value_kind:     by_value
      - .offset:         32
        .size:           8
        .value_kind:     by_value
      - .address_space:  global
        .offset:         40
        .size:           8
        .value_kind:     global_buffer
      - .offset:         48
        .size:           8
        .value_kind:     by_value
      - .offset:         56
        .size:           8
        .value_kind:     by_value
      - .offset:         64
        .size:           8
        .value_kind:     by_value
      - .address_space:  global
        .offset:         72
        .size:           8
        .value_kind:     global_buffer
      - .offset:         80
        .size:           8
        .value_kind:     by_value
      - .offset:         88
        .size:           8
        .value_kind:     by_value
      - .offset:         96
        .size:           8
        .value_kind:     by_value
    .group_segment_fixed_size: 0
    .kernarg_segment_align: 8
    .kernarg_segment_size: 104
    .language:       OpenCL C
    .language_version:
      - 2
      - 0
    .max_flat_workgroup_size: 1024
    .name:           _ZL26rocblas_dgmm_gfx942_kernelILi32ELi32ELb0EPKPKfPKPfEviiT2_lllS7_lllT3_lll
    .private_segment_fixed_size: 0
    .sgpr_count:     0
    .sgpr_spill_count: 0
    .symbol:         _ZL26rocblas_dgmm_gfx942_kernelILi32ELi32ELb0EPKPKfPKPfEviiT2_lllS7_lllT3_lll.kd
    .uniform_work_group_size: 1
    .uses_dynamic_stack: false
    .vgpr_count:     0
    .vgpr_spill_count: 0
    .wavefront_size: 32
    .workgroup_processor_mode: 1
  - .args:
      - .offset:         0
        .size:           4
        .value_kind:     by_value
      - .offset:         4
        .size:           4
        .value_kind:     by_value
      - .address_space:  global
        .offset:         8
        .size:           8
        .value_kind:     global_buffer
      - .offset:         16
        .size:           8
        .value_kind:     by_value
      - .offset:         24
        .size:           8
        .value_kind:     by_value
      - .offset:         32
        .size:           8
        .value_kind:     by_value
      - .address_space:  global
        .offset:         40
        .size:           8
        .value_kind:     global_buffer
      - .offset:         48
        .size:           8
        .value_kind:     by_value
      - .offset:         56
        .size:           8
        .value_kind:     by_value
      - .offset:         64
        .size:           8
        .value_kind:     by_value
      - .address_space:  global
        .offset:         72
        .size:           8
        .value_kind:     global_buffer
      - .offset:         80
        .size:           8
        .value_kind:     by_value
      - .offset:         88
        .size:           8
        .value_kind:     by_value
      - .offset:         96
        .size:           8
        .value_kind:     by_value
      - .offset:         104
        .size:           4
        .value_kind:     by_value
      - .offset:         112
        .size:           4
        .value_kind:     hidden_block_count_x
      - .offset:         116
        .size:           4
        .value_kind:     hidden_block_count_y
      - .offset:         120
        .size:           4
        .value_kind:     hidden_block_count_z
      - .offset:         124
        .size:           2
        .value_kind:     hidden_group_size_x
      - .offset:         126
        .size:           2
        .value_kind:     hidden_group_size_y
      - .offset:         128
        .size:           2
        .value_kind:     hidden_group_size_z
      - .offset:         130
        .size:           2
        .value_kind:     hidden_remainder_x
      - .offset:         132
        .size:           2
        .value_kind:     hidden_remainder_y
      - .offset:         134
        .size:           2
        .value_kind:     hidden_remainder_z
      - .offset:         152
        .size:           8
        .value_kind:     hidden_global_offset_x
      - .offset:         160
        .size:           8
        .value_kind:     hidden_global_offset_y
      - .offset:         168
        .size:           8
        .value_kind:     hidden_global_offset_z
      - .offset:         176
        .size:           2
        .value_kind:     hidden_grid_dims
    .group_segment_fixed_size: 0
    .kernarg_segment_align: 8
    .kernarg_segment_size: 368
    .language:       OpenCL C
    .language_version:
      - 2
      - 0
    .max_flat_workgroup_size: 256
    .name:           _ZL19rocblas_dgmm_kernelILi16ELi16ELb0EPKPKfPKPfEviiT2_lllS7_lllT3_llli
    .private_segment_fixed_size: 0
    .sgpr_count:     22
    .sgpr_spill_count: 0
    .symbol:         _ZL19rocblas_dgmm_kernelILi16ELi16ELb0EPKPKfPKPfEviiT2_lllS7_lllT3_llli.kd
    .uniform_work_group_size: 1
    .uses_dynamic_stack: false
    .vgpr_count:     13
    .vgpr_spill_count: 0
    .wavefront_size: 32
    .workgroup_processor_mode: 1
  - .args:
      - .offset:         0
        .size:           4
        .value_kind:     by_value
      - .offset:         4
        .size:           4
        .value_kind:     by_value
      - .address_space:  global
        .offset:         8
        .size:           8
        .value_kind:     global_buffer
      - .offset:         16
        .size:           8
        .value_kind:     by_value
      - .offset:         24
        .size:           8
        .value_kind:     by_value
      - .offset:         32
        .size:           8
        .value_kind:     by_value
      - .address_space:  global
        .offset:         40
        .size:           8
        .value_kind:     global_buffer
      - .offset:         48
        .size:           8
        .value_kind:     by_value
      - .offset:         56
        .size:           8
        .value_kind:     by_value
      - .offset:         64
        .size:           8
        .value_kind:     by_value
      - .address_space:  global
        .offset:         72
        .size:           8
        .value_kind:     global_buffer
      - .offset:         80
        .size:           8
        .value_kind:     by_value
      - .offset:         88
        .size:           8
        .value_kind:     by_value
      - .offset:         96
        .size:           8
        .value_kind:     by_value
    .group_segment_fixed_size: 0
    .kernarg_segment_align: 8
    .kernarg_segment_size: 104
    .language:       OpenCL C
    .language_version:
      - 2
      - 0
    .max_flat_workgroup_size: 1024
    .name:           _ZL26rocblas_dgmm_gfx942_kernelILi32ELi32ELb1EPKPKfPKPfEviiT2_lllS7_lllT3_lll
    .private_segment_fixed_size: 0
    .sgpr_count:     0
    .sgpr_spill_count: 0
    .symbol:         _ZL26rocblas_dgmm_gfx942_kernelILi32ELi32ELb1EPKPKfPKPfEviiT2_lllS7_lllT3_lll.kd
    .uniform_work_group_size: 1
    .uses_dynamic_stack: false
    .vgpr_count:     0
    .vgpr_spill_count: 0
    .wavefront_size: 32
    .workgroup_processor_mode: 1
  - .args:
      - .offset:         0
        .size:           4
        .value_kind:     by_value
      - .offset:         4
        .size:           4
        .value_kind:     by_value
      - .address_space:  global
        .offset:         8
        .size:           8
        .value_kind:     global_buffer
      - .offset:         16
        .size:           8
        .value_kind:     by_value
      - .offset:         24
        .size:           8
        .value_kind:     by_value
      - .offset:         32
        .size:           8
        .value_kind:     by_value
      - .address_space:  global
        .offset:         40
        .size:           8
        .value_kind:     global_buffer
      - .offset:         48
        .size:           8
        .value_kind:     by_value
      - .offset:         56
        .size:           8
        .value_kind:     by_value
      - .offset:         64
        .size:           8
        .value_kind:     by_value
      - .address_space:  global
        .offset:         72
        .size:           8
        .value_kind:     global_buffer
      - .offset:         80
        .size:           8
        .value_kind:     by_value
      - .offset:         88
        .size:           8
        .value_kind:     by_value
      - .offset:         96
        .size:           8
        .value_kind:     by_value
      - .offset:         104
        .size:           4
        .value_kind:     by_value
      - .offset:         112
        .size:           4
        .value_kind:     hidden_block_count_x
      - .offset:         116
        .size:           4
        .value_kind:     hidden_block_count_y
      - .offset:         120
        .size:           4
        .value_kind:     hidden_block_count_z
      - .offset:         124
        .size:           2
        .value_kind:     hidden_group_size_x
      - .offset:         126
        .size:           2
        .value_kind:     hidden_group_size_y
      - .offset:         128
        .size:           2
        .value_kind:     hidden_group_size_z
      - .offset:         130
        .size:           2
        .value_kind:     hidden_remainder_x
      - .offset:         132
        .size:           2
        .value_kind:     hidden_remainder_y
      - .offset:         134
        .size:           2
        .value_kind:     hidden_remainder_z
      - .offset:         152
        .size:           8
        .value_kind:     hidden_global_offset_x
      - .offset:         160
        .size:           8
        .value_kind:     hidden_global_offset_y
      - .offset:         168
        .size:           8
        .value_kind:     hidden_global_offset_z
      - .offset:         176
        .size:           2
        .value_kind:     hidden_grid_dims
    .group_segment_fixed_size: 0
    .kernarg_segment_align: 8
    .kernarg_segment_size: 368
    .language:       OpenCL C
    .language_version:
      - 2
      - 0
    .max_flat_workgroup_size: 256
    .name:           _ZL19rocblas_dgmm_kernelILi16ELi16ELb1EPKPKfPKPfEviiT2_lllS7_lllT3_llli
    .private_segment_fixed_size: 0
    .sgpr_count:     26
    .sgpr_spill_count: 0
    .symbol:         _ZL19rocblas_dgmm_kernelILi16ELi16ELb1EPKPKfPKPfEviiT2_lllS7_lllT3_llli.kd
    .uniform_work_group_size: 1
    .uses_dynamic_stack: false
    .vgpr_count:     14
    .vgpr_spill_count: 0
    .wavefront_size: 32
    .workgroup_processor_mode: 1
  - .args:
      - .offset:         0
        .size:           4
        .value_kind:     by_value
      - .offset:         4
        .size:           4
        .value_kind:     by_value
      - .address_space:  global
        .offset:         8
        .size:           8
        .value_kind:     global_buffer
      - .offset:         16
        .size:           8
        .value_kind:     by_value
      - .offset:         24
        .size:           8
        .value_kind:     by_value
      - .offset:         32
        .size:           8
        .value_kind:     by_value
      - .address_space:  global
        .offset:         40
        .size:           8
        .value_kind:     global_buffer
      - .offset:         48
        .size:           8
        .value_kind:     by_value
      - .offset:         56
        .size:           8
        .value_kind:     by_value
      - .offset:         64
        .size:           8
        .value_kind:     by_value
      - .address_space:  global
        .offset:         72
        .size:           8
        .value_kind:     global_buffer
      - .offset:         80
        .size:           8
        .value_kind:     by_value
      - .offset:         88
        .size:           8
        .value_kind:     by_value
      - .offset:         96
        .size:           8
        .value_kind:     by_value
    .group_segment_fixed_size: 0
    .kernarg_segment_align: 8
    .kernarg_segment_size: 104
    .language:       OpenCL C
    .language_version:
      - 2
      - 0
    .max_flat_workgroup_size: 1024
    .name:           _ZL26rocblas_dgmm_gfx942_kernelILi32ELi32ELb0EPKPKdPKPdEviiT2_lllS7_lllT3_lll
    .private_segment_fixed_size: 0
    .sgpr_count:     0
    .sgpr_spill_count: 0
    .symbol:         _ZL26rocblas_dgmm_gfx942_kernelILi32ELi32ELb0EPKPKdPKPdEviiT2_lllS7_lllT3_lll.kd
    .uniform_work_group_size: 1
    .uses_dynamic_stack: false
    .vgpr_count:     0
    .vgpr_spill_count: 0
    .wavefront_size: 32
    .workgroup_processor_mode: 1
  - .args:
      - .offset:         0
        .size:           4
        .value_kind:     by_value
      - .offset:         4
        .size:           4
        .value_kind:     by_value
      - .address_space:  global
        .offset:         8
        .size:           8
        .value_kind:     global_buffer
      - .offset:         16
        .size:           8
        .value_kind:     by_value
      - .offset:         24
        .size:           8
        .value_kind:     by_value
      - .offset:         32
        .size:           8
        .value_kind:     by_value
      - .address_space:  global
        .offset:         40
        .size:           8
        .value_kind:     global_buffer
      - .offset:         48
        .size:           8
        .value_kind:     by_value
      - .offset:         56
        .size:           8
        .value_kind:     by_value
      - .offset:         64
        .size:           8
        .value_kind:     by_value
      - .address_space:  global
        .offset:         72
        .size:           8
        .value_kind:     global_buffer
      - .offset:         80
        .size:           8
        .value_kind:     by_value
      - .offset:         88
        .size:           8
        .value_kind:     by_value
      - .offset:         96
        .size:           8
        .value_kind:     by_value
      - .offset:         104
        .size:           4
        .value_kind:     by_value
      - .offset:         112
        .size:           4
        .value_kind:     hidden_block_count_x
      - .offset:         116
        .size:           4
        .value_kind:     hidden_block_count_y
      - .offset:         120
        .size:           4
        .value_kind:     hidden_block_count_z
      - .offset:         124
        .size:           2
        .value_kind:     hidden_group_size_x
      - .offset:         126
        .size:           2
        .value_kind:     hidden_group_size_y
      - .offset:         128
        .size:           2
        .value_kind:     hidden_group_size_z
      - .offset:         130
        .size:           2
        .value_kind:     hidden_remainder_x
      - .offset:         132
        .size:           2
        .value_kind:     hidden_remainder_y
      - .offset:         134
        .size:           2
        .value_kind:     hidden_remainder_z
      - .offset:         152
        .size:           8
        .value_kind:     hidden_global_offset_x
      - .offset:         160
        .size:           8
        .value_kind:     hidden_global_offset_y
      - .offset:         168
        .size:           8
        .value_kind:     hidden_global_offset_z
      - .offset:         176
        .size:           2
        .value_kind:     hidden_grid_dims
    .group_segment_fixed_size: 0
    .kernarg_segment_align: 8
    .kernarg_segment_size: 368
    .language:       OpenCL C
    .language_version:
      - 2
      - 0
    .max_flat_workgroup_size: 256
    .name:           _ZL19rocblas_dgmm_kernelILi16ELi16ELb0EPKPKdPKPdEviiT2_lllS7_lllT3_llli
    .private_segment_fixed_size: 0
    .sgpr_count:     22
    .sgpr_spill_count: 0
    .symbol:         _ZL19rocblas_dgmm_kernelILi16ELi16ELb0EPKPKdPKPdEviiT2_lllS7_lllT3_llli.kd
    .uniform_work_group_size: 1
    .uses_dynamic_stack: false
    .vgpr_count:     13
    .vgpr_spill_count: 0
    .wavefront_size: 32
    .workgroup_processor_mode: 1
  - .args:
      - .offset:         0
        .size:           4
        .value_kind:     by_value
      - .offset:         4
        .size:           4
        .value_kind:     by_value
      - .address_space:  global
        .offset:         8
        .size:           8
        .value_kind:     global_buffer
      - .offset:         16
        .size:           8
        .value_kind:     by_value
      - .offset:         24
        .size:           8
        .value_kind:     by_value
      - .offset:         32
        .size:           8
        .value_kind:     by_value
      - .address_space:  global
        .offset:         40
        .size:           8
        .value_kind:     global_buffer
      - .offset:         48
        .size:           8
        .value_kind:     by_value
      - .offset:         56
        .size:           8
        .value_kind:     by_value
      - .offset:         64
        .size:           8
        .value_kind:     by_value
      - .address_space:  global
        .offset:         72
        .size:           8
        .value_kind:     global_buffer
      - .offset:         80
        .size:           8
        .value_kind:     by_value
      - .offset:         88
        .size:           8
        .value_kind:     by_value
      - .offset:         96
        .size:           8
        .value_kind:     by_value
    .group_segment_fixed_size: 0
    .kernarg_segment_align: 8
    .kernarg_segment_size: 104
    .language:       OpenCL C
    .language_version:
      - 2
      - 0
    .max_flat_workgroup_size: 1024
    .name:           _ZL26rocblas_dgmm_gfx942_kernelILi32ELi32ELb1EPKPKdPKPdEviiT2_lllS7_lllT3_lll
    .private_segment_fixed_size: 0
    .sgpr_count:     0
    .sgpr_spill_count: 0
    .symbol:         _ZL26rocblas_dgmm_gfx942_kernelILi32ELi32ELb1EPKPKdPKPdEviiT2_lllS7_lllT3_lll.kd
    .uniform_work_group_size: 1
    .uses_dynamic_stack: false
    .vgpr_count:     0
    .vgpr_spill_count: 0
    .wavefront_size: 32
    .workgroup_processor_mode: 1
  - .args:
      - .offset:         0
        .size:           4
        .value_kind:     by_value
      - .offset:         4
        .size:           4
        .value_kind:     by_value
      - .address_space:  global
        .offset:         8
        .size:           8
        .value_kind:     global_buffer
      - .offset:         16
        .size:           8
        .value_kind:     by_value
      - .offset:         24
        .size:           8
        .value_kind:     by_value
      - .offset:         32
        .size:           8
        .value_kind:     by_value
      - .address_space:  global
        .offset:         40
        .size:           8
        .value_kind:     global_buffer
      - .offset:         48
        .size:           8
        .value_kind:     by_value
      - .offset:         56
        .size:           8
        .value_kind:     by_value
      - .offset:         64
        .size:           8
        .value_kind:     by_value
      - .address_space:  global
        .offset:         72
        .size:           8
        .value_kind:     global_buffer
      - .offset:         80
        .size:           8
        .value_kind:     by_value
      - .offset:         88
        .size:           8
        .value_kind:     by_value
      - .offset:         96
        .size:           8
        .value_kind:     by_value
      - .offset:         104
        .size:           4
        .value_kind:     by_value
      - .offset:         112
        .size:           4
        .value_kind:     hidden_block_count_x
      - .offset:         116
        .size:           4
        .value_kind:     hidden_block_count_y
      - .offset:         120
        .size:           4
        .value_kind:     hidden_block_count_z
      - .offset:         124
        .size:           2
        .value_kind:     hidden_group_size_x
      - .offset:         126
        .size:           2
        .value_kind:     hidden_group_size_y
      - .offset:         128
        .size:           2
        .value_kind:     hidden_group_size_z
      - .offset:         130
        .size:           2
        .value_kind:     hidden_remainder_x
      - .offset:         132
        .size:           2
        .value_kind:     hidden_remainder_y
      - .offset:         134
        .size:           2
        .value_kind:     hidden_remainder_z
      - .offset:         152
        .size:           8
        .value_kind:     hidden_global_offset_x
      - .offset:         160
        .size:           8
        .value_kind:     hidden_global_offset_y
      - .offset:         168
        .size:           8
        .value_kind:     hidden_global_offset_z
      - .offset:         176
        .size:           2
        .value_kind:     hidden_grid_dims
    .group_segment_fixed_size: 0
    .kernarg_segment_align: 8
    .kernarg_segment_size: 368
    .language:       OpenCL C
    .language_version:
      - 2
      - 0
    .max_flat_workgroup_size: 256
    .name:           _ZL19rocblas_dgmm_kernelILi16ELi16ELb1EPKPKdPKPdEviiT2_lllS7_lllT3_llli
    .private_segment_fixed_size: 0
    .sgpr_count:     26
    .sgpr_spill_count: 0
    .symbol:         _ZL19rocblas_dgmm_kernelILi16ELi16ELb1EPKPKdPKPdEviiT2_lllS7_lllT3_llli.kd
    .uniform_work_group_size: 1
    .uses_dynamic_stack: false
    .vgpr_count:     14
    .vgpr_spill_count: 0
    .wavefront_size: 32
    .workgroup_processor_mode: 1
  - .args:
      - .offset:         0
        .size:           4
        .value_kind:     by_value
      - .offset:         4
        .size:           4
        .value_kind:     by_value
      - .address_space:  global
        .offset:         8
        .size:           8
        .value_kind:     global_buffer
      - .offset:         16
        .size:           8
        .value_kind:     by_value
      - .offset:         24
        .size:           8
        .value_kind:     by_value
      - .offset:         32
        .size:           8
        .value_kind:     by_value
      - .address_space:  global
        .offset:         40
        .size:           8
        .value_kind:     global_buffer
      - .offset:         48
        .size:           8
        .value_kind:     by_value
      - .offset:         56
        .size:           8
        .value_kind:     by_value
      - .offset:         64
        .size:           8
        .value_kind:     by_value
      - .address_space:  global
        .offset:         72
        .size:           8
        .value_kind:     global_buffer
      - .offset:         80
        .size:           8
        .value_kind:     by_value
      - .offset:         88
        .size:           8
        .value_kind:     by_value
      - .offset:         96
        .size:           8
        .value_kind:     by_value
    .group_segment_fixed_size: 0
    .kernarg_segment_align: 8
    .kernarg_segment_size: 104
    .language:       OpenCL C
    .language_version:
      - 2
      - 0
    .max_flat_workgroup_size: 1024
    .name:           _ZL26rocblas_dgmm_gfx942_kernelILi32ELi32ELb0EPKPK19rocblas_complex_numIfEPKPS1_EviiT2_lllS9_lllT3_lll
    .private_segment_fixed_size: 0
    .sgpr_count:     0
    .sgpr_spill_count: 0
    .symbol:         _ZL26rocblas_dgmm_gfx942_kernelILi32ELi32ELb0EPKPK19rocblas_complex_numIfEPKPS1_EviiT2_lllS9_lllT3_lll.kd
    .uniform_work_group_size: 1
    .uses_dynamic_stack: false
    .vgpr_count:     0
    .vgpr_spill_count: 0
    .wavefront_size: 32
    .workgroup_processor_mode: 1
  - .args:
      - .offset:         0
        .size:           4
        .value_kind:     by_value
      - .offset:         4
        .size:           4
        .value_kind:     by_value
      - .address_space:  global
        .offset:         8
        .size:           8
        .value_kind:     global_buffer
      - .offset:         16
        .size:           8
        .value_kind:     by_value
      - .offset:         24
        .size:           8
        .value_kind:     by_value
      - .offset:         32
        .size:           8
        .value_kind:     by_value
      - .address_space:  global
        .offset:         40
        .size:           8
        .value_kind:     global_buffer
      - .offset:         48
        .size:           8
        .value_kind:     by_value
      - .offset:         56
        .size:           8
        .value_kind:     by_value
      - .offset:         64
        .size:           8
        .value_kind:     by_value
      - .address_space:  global
        .offset:         72
        .size:           8
        .value_kind:     global_buffer
      - .offset:         80
        .size:           8
        .value_kind:     by_value
      - .offset:         88
        .size:           8
        .value_kind:     by_value
      - .offset:         96
        .size:           8
        .value_kind:     by_value
      - .offset:         104
        .size:           4
        .value_kind:     by_value
      - .offset:         112
        .size:           4
        .value_kind:     hidden_block_count_x
      - .offset:         116
        .size:           4
        .value_kind:     hidden_block_count_y
      - .offset:         120
        .size:           4
        .value_kind:     hidden_block_count_z
      - .offset:         124
        .size:           2
        .value_kind:     hidden_group_size_x
      - .offset:         126
        .size:           2
        .value_kind:     hidden_group_size_y
      - .offset:         128
        .size:           2
        .value_kind:     hidden_group_size_z
      - .offset:         130
        .size:           2
        .value_kind:     hidden_remainder_x
      - .offset:         132
        .size:           2
        .value_kind:     hidden_remainder_y
      - .offset:         134
        .size:           2
        .value_kind:     hidden_remainder_z
      - .offset:         152
        .size:           8
        .value_kind:     hidden_global_offset_x
      - .offset:         160
        .size:           8
        .value_kind:     hidden_global_offset_y
      - .offset:         168
        .size:           8
        .value_kind:     hidden_global_offset_z
      - .offset:         176
        .size:           2
        .value_kind:     hidden_grid_dims
    .group_segment_fixed_size: 0
    .kernarg_segment_align: 8
    .kernarg_segment_size: 368
    .language:       OpenCL C
    .language_version:
      - 2
      - 0
    .max_flat_workgroup_size: 256
    .name:           _ZL19rocblas_dgmm_kernelILi16ELi16ELb0EPKPK19rocblas_complex_numIfEPKPS1_EviiT2_lllS9_lllT3_llli
    .private_segment_fixed_size: 0
    .sgpr_count:     22
    .sgpr_spill_count: 0
    .symbol:         _ZL19rocblas_dgmm_kernelILi16ELi16ELb0EPKPK19rocblas_complex_numIfEPKPS1_EviiT2_lllS9_lllT3_llli.kd
    .uniform_work_group_size: 1
    .uses_dynamic_stack: false
    .vgpr_count:     17
    .vgpr_spill_count: 0
    .wavefront_size: 32
    .workgroup_processor_mode: 1
  - .args:
      - .offset:         0
        .size:           4
        .value_kind:     by_value
      - .offset:         4
        .size:           4
        .value_kind:     by_value
      - .address_space:  global
        .offset:         8
        .size:           8
        .value_kind:     global_buffer
      - .offset:         16
        .size:           8
        .value_kind:     by_value
      - .offset:         24
        .size:           8
        .value_kind:     by_value
      - .offset:         32
        .size:           8
        .value_kind:     by_value
      - .address_space:  global
        .offset:         40
        .size:           8
        .value_kind:     global_buffer
      - .offset:         48
        .size:           8
        .value_kind:     by_value
      - .offset:         56
        .size:           8
        .value_kind:     by_value
      - .offset:         64
        .size:           8
        .value_kind:     by_value
      - .address_space:  global
        .offset:         72
        .size:           8
        .value_kind:     global_buffer
      - .offset:         80
        .size:           8
        .value_kind:     by_value
      - .offset:         88
        .size:           8
        .value_kind:     by_value
      - .offset:         96
        .size:           8
        .value_kind:     by_value
    .group_segment_fixed_size: 0
    .kernarg_segment_align: 8
    .kernarg_segment_size: 104
    .language:       OpenCL C
    .language_version:
      - 2
      - 0
    .max_flat_workgroup_size: 1024
    .name:           _ZL26rocblas_dgmm_gfx942_kernelILi32ELi32ELb1EPKPK19rocblas_complex_numIfEPKPS1_EviiT2_lllS9_lllT3_lll
    .private_segment_fixed_size: 0
    .sgpr_count:     0
    .sgpr_spill_count: 0
    .symbol:         _ZL26rocblas_dgmm_gfx942_kernelILi32ELi32ELb1EPKPK19rocblas_complex_numIfEPKPS1_EviiT2_lllS9_lllT3_lll.kd
    .uniform_work_group_size: 1
    .uses_dynamic_stack: false
    .vgpr_count:     0
    .vgpr_spill_count: 0
    .wavefront_size: 32
    .workgroup_processor_mode: 1
  - .args:
      - .offset:         0
        .size:           4
        .value_kind:     by_value
      - .offset:         4
        .size:           4
        .value_kind:     by_value
      - .address_space:  global
        .offset:         8
        .size:           8
        .value_kind:     global_buffer
      - .offset:         16
        .size:           8
        .value_kind:     by_value
      - .offset:         24
        .size:           8
        .value_kind:     by_value
      - .offset:         32
        .size:           8
        .value_kind:     by_value
      - .address_space:  global
        .offset:         40
        .size:           8
        .value_kind:     global_buffer
      - .offset:         48
        .size:           8
        .value_kind:     by_value
      - .offset:         56
        .size:           8
        .value_kind:     by_value
      - .offset:         64
        .size:           8
        .value_kind:     by_value
      - .address_space:  global
        .offset:         72
        .size:           8
        .value_kind:     global_buffer
      - .offset:         80
        .size:           8
        .value_kind:     by_value
      - .offset:         88
        .size:           8
        .value_kind:     by_value
      - .offset:         96
        .size:           8
        .value_kind:     by_value
      - .offset:         104
        .size:           4
        .value_kind:     by_value
      - .offset:         112
        .size:           4
        .value_kind:     hidden_block_count_x
      - .offset:         116
        .size:           4
        .value_kind:     hidden_block_count_y
      - .offset:         120
        .size:           4
        .value_kind:     hidden_block_count_z
      - .offset:         124
        .size:           2
        .value_kind:     hidden_group_size_x
      - .offset:         126
        .size:           2
        .value_kind:     hidden_group_size_y
      - .offset:         128
        .size:           2
        .value_kind:     hidden_group_size_z
      - .offset:         130
        .size:           2
        .value_kind:     hidden_remainder_x
      - .offset:         132
        .size:           2
        .value_kind:     hidden_remainder_y
      - .offset:         134
        .size:           2
        .value_kind:     hidden_remainder_z
      - .offset:         152
        .size:           8
        .value_kind:     hidden_global_offset_x
      - .offset:         160
        .size:           8
        .value_kind:     hidden_global_offset_y
      - .offset:         168
        .size:           8
        .value_kind:     hidden_global_offset_z
      - .offset:         176
        .size:           2
        .value_kind:     hidden_grid_dims
    .group_segment_fixed_size: 0
    .kernarg_segment_align: 8
    .kernarg_segment_size: 368
    .language:       OpenCL C
    .language_version:
      - 2
      - 0
    .max_flat_workgroup_size: 256
    .name:           _ZL19rocblas_dgmm_kernelILi16ELi16ELb1EPKPK19rocblas_complex_numIfEPKPS1_EviiT2_lllS9_lllT3_llli
    .private_segment_fixed_size: 0
    .sgpr_count:     26
    .sgpr_spill_count: 0
    .symbol:         _ZL19rocblas_dgmm_kernelILi16ELi16ELb1EPKPK19rocblas_complex_numIfEPKPS1_EviiT2_lllS9_lllT3_llli.kd
    .uniform_work_group_size: 1
    .uses_dynamic_stack: false
    .vgpr_count:     15
    .vgpr_spill_count: 0
    .wavefront_size: 32
    .workgroup_processor_mode: 1
  - .args:
      - .offset:         0
        .size:           4
        .value_kind:     by_value
      - .offset:         4
        .size:           4
        .value_kind:     by_value
      - .address_space:  global
        .offset:         8
        .size:           8
        .value_kind:     global_buffer
      - .offset:         16
        .size:           8
        .value_kind:     by_value
      - .offset:         24
        .size:           8
        .value_kind:     by_value
      - .offset:         32
        .size:           8
        .value_kind:     by_value
      - .address_space:  global
        .offset:         40
        .size:           8
        .value_kind:     global_buffer
      - .offset:         48
        .size:           8
        .value_kind:     by_value
      - .offset:         56
        .size:           8
        .value_kind:     by_value
      - .offset:         64
        .size:           8
        .value_kind:     by_value
      - .address_space:  global
        .offset:         72
        .size:           8
        .value_kind:     global_buffer
      - .offset:         80
        .size:           8
        .value_kind:     by_value
      - .offset:         88
        .size:           8
        .value_kind:     by_value
      - .offset:         96
        .size:           8
        .value_kind:     by_value
    .group_segment_fixed_size: 0
    .kernarg_segment_align: 8
    .kernarg_segment_size: 104
    .language:       OpenCL C
    .language_version:
      - 2
      - 0
    .max_flat_workgroup_size: 1024
    .name:           _ZL26rocblas_dgmm_gfx942_kernelILi32ELi32ELb0EPKPK19rocblas_complex_numIdEPKPS1_EviiT2_lllS9_lllT3_lll
    .private_segment_fixed_size: 0
    .sgpr_count:     0
    .sgpr_spill_count: 0
    .symbol:         _ZL26rocblas_dgmm_gfx942_kernelILi32ELi32ELb0EPKPK19rocblas_complex_numIdEPKPS1_EviiT2_lllS9_lllT3_lll.kd
    .uniform_work_group_size: 1
    .uses_dynamic_stack: false
    .vgpr_count:     0
    .vgpr_spill_count: 0
    .wavefront_size: 32
    .workgroup_processor_mode: 1
  - .args:
      - .offset:         0
        .size:           4
        .value_kind:     by_value
      - .offset:         4
        .size:           4
        .value_kind:     by_value
      - .address_space:  global
        .offset:         8
        .size:           8
        .value_kind:     global_buffer
      - .offset:         16
        .size:           8
        .value_kind:     by_value
      - .offset:         24
        .size:           8
        .value_kind:     by_value
      - .offset:         32
        .size:           8
        .value_kind:     by_value
      - .address_space:  global
        .offset:         40
        .size:           8
        .value_kind:     global_buffer
      - .offset:         48
        .size:           8
        .value_kind:     by_value
      - .offset:         56
        .size:           8
        .value_kind:     by_value
      - .offset:         64
        .size:           8
        .value_kind:     by_value
      - .address_space:  global
        .offset:         72
        .size:           8
        .value_kind:     global_buffer
      - .offset:         80
        .size:           8
        .value_kind:     by_value
      - .offset:         88
        .size:           8
        .value_kind:     by_value
      - .offset:         96
        .size:           8
        .value_kind:     by_value
      - .offset:         104
        .size:           4
        .value_kind:     by_value
      - .offset:         112
        .size:           4
        .value_kind:     hidden_block_count_x
      - .offset:         116
        .size:           4
        .value_kind:     hidden_block_count_y
      - .offset:         120
        .size:           4
        .value_kind:     hidden_block_count_z
      - .offset:         124
        .size:           2
        .value_kind:     hidden_group_size_x
      - .offset:         126
        .size:           2
        .value_kind:     hidden_group_size_y
      - .offset:         128
        .size:           2
        .value_kind:     hidden_group_size_z
      - .offset:         130
        .size:           2
        .value_kind:     hidden_remainder_x
      - .offset:         132
        .size:           2
        .value_kind:     hidden_remainder_y
      - .offset:         134
        .size:           2
        .value_kind:     hidden_remainder_z
      - .offset:         152
        .size:           8
        .value_kind:     hidden_global_offset_x
      - .offset:         160
        .size:           8
        .value_kind:     hidden_global_offset_y
      - .offset:         168
        .size:           8
        .value_kind:     hidden_global_offset_z
      - .offset:         176
        .size:           2
        .value_kind:     hidden_grid_dims
    .group_segment_fixed_size: 0
    .kernarg_segment_align: 8
    .kernarg_segment_size: 368
    .language:       OpenCL C
    .language_version:
      - 2
      - 0
    .max_flat_workgroup_size: 256
    .name:           _ZL19rocblas_dgmm_kernelILi16ELi16ELb0EPKPK19rocblas_complex_numIdEPKPS1_EviiT2_lllS9_lllT3_llli
    .private_segment_fixed_size: 0
    .sgpr_count:     22
    .sgpr_spill_count: 0
    .symbol:         _ZL19rocblas_dgmm_kernelILi16ELi16ELb0EPKPK19rocblas_complex_numIdEPKPS1_EviiT2_lllS9_lllT3_llli.kd
    .uniform_work_group_size: 1
    .uses_dynamic_stack: false
    .vgpr_count:     18
    .vgpr_spill_count: 0
    .wavefront_size: 32
    .workgroup_processor_mode: 1
  - .args:
      - .offset:         0
        .size:           4
        .value_kind:     by_value
      - .offset:         4
        .size:           4
        .value_kind:     by_value
      - .address_space:  global
        .offset:         8
        .size:           8
        .value_kind:     global_buffer
      - .offset:         16
        .size:           8
        .value_kind:     by_value
      - .offset:         24
        .size:           8
        .value_kind:     by_value
      - .offset:         32
        .size:           8
        .value_kind:     by_value
      - .address_space:  global
        .offset:         40
        .size:           8
        .value_kind:     global_buffer
      - .offset:         48
        .size:           8
        .value_kind:     by_value
      - .offset:         56
        .size:           8
        .value_kind:     by_value
      - .offset:         64
        .size:           8
        .value_kind:     by_value
      - .address_space:  global
        .offset:         72
        .size:           8
        .value_kind:     global_buffer
      - .offset:         80
        .size:           8
        .value_kind:     by_value
      - .offset:         88
        .size:           8
        .value_kind:     by_value
      - .offset:         96
        .size:           8
        .value_kind:     by_value
    .group_segment_fixed_size: 0
    .kernarg_segment_align: 8
    .kernarg_segment_size: 104
    .language:       OpenCL C
    .language_version:
      - 2
      - 0
    .max_flat_workgroup_size: 1024
    .name:           _ZL26rocblas_dgmm_gfx942_kernelILi32ELi32ELb1EPKPK19rocblas_complex_numIdEPKPS1_EviiT2_lllS9_lllT3_lll
    .private_segment_fixed_size: 0
    .sgpr_count:     0
    .sgpr_spill_count: 0
    .symbol:         _ZL26rocblas_dgmm_gfx942_kernelILi32ELi32ELb1EPKPK19rocblas_complex_numIdEPKPS1_EviiT2_lllS9_lllT3_lll.kd
    .uniform_work_group_size: 1
    .uses_dynamic_stack: false
    .vgpr_count:     0
    .vgpr_spill_count: 0
    .wavefront_size: 32
    .workgroup_processor_mode: 1
  - .args:
      - .offset:         0
        .size:           4
        .value_kind:     by_value
      - .offset:         4
        .size:           4
        .value_kind:     by_value
      - .address_space:  global
        .offset:         8
        .size:           8
        .value_kind:     global_buffer
      - .offset:         16
        .size:           8
        .value_kind:     by_value
      - .offset:         24
        .size:           8
        .value_kind:     by_value
      - .offset:         32
        .size:           8
        .value_kind:     by_value
      - .address_space:  global
        .offset:         40
        .size:           8
        .value_kind:     global_buffer
      - .offset:         48
        .size:           8
        .value_kind:     by_value
      - .offset:         56
        .size:           8
        .value_kind:     by_value
      - .offset:         64
        .size:           8
        .value_kind:     by_value
      - .address_space:  global
        .offset:         72
        .size:           8
        .value_kind:     global_buffer
      - .offset:         80
        .size:           8
        .value_kind:     by_value
      - .offset:         88
        .size:           8
        .value_kind:     by_value
      - .offset:         96
        .size:           8
        .value_kind:     by_value
      - .offset:         104
        .size:           4
        .value_kind:     by_value
      - .offset:         112
        .size:           4
        .value_kind:     hidden_block_count_x
      - .offset:         116
        .size:           4
        .value_kind:     hidden_block_count_y
      - .offset:         120
        .size:           4
        .value_kind:     hidden_block_count_z
      - .offset:         124
        .size:           2
        .value_kind:     hidden_group_size_x
      - .offset:         126
        .size:           2
        .value_kind:     hidden_group_size_y
      - .offset:         128
        .size:           2
        .value_kind:     hidden_group_size_z
      - .offset:         130
        .size:           2
        .value_kind:     hidden_remainder_x
      - .offset:         132
        .size:           2
        .value_kind:     hidden_remainder_y
      - .offset:         134
        .size:           2
        .value_kind:     hidden_remainder_z
      - .offset:         152
        .size:           8
        .value_kind:     hidden_global_offset_x
      - .offset:         160
        .size:           8
        .value_kind:     hidden_global_offset_y
      - .offset:         168
        .size:           8
        .value_kind:     hidden_global_offset_z
      - .offset:         176
        .size:           2
        .value_kind:     hidden_grid_dims
    .group_segment_fixed_size: 0
    .kernarg_segment_align: 8
    .kernarg_segment_size: 368
    .language:       OpenCL C
    .language_version:
      - 2
      - 0
    .max_flat_workgroup_size: 256
    .name:           _ZL19rocblas_dgmm_kernelILi16ELi16ELb1EPKPK19rocblas_complex_numIdEPKPS1_EviiT2_lllS9_lllT3_llli
    .private_segment_fixed_size: 0
    .sgpr_count:     26
    .sgpr_spill_count: 0
    .symbol:         _ZL19rocblas_dgmm_kernelILi16ELi16ELb1EPKPK19rocblas_complex_numIdEPKPS1_EviiT2_lllS9_lllT3_llli.kd
    .uniform_work_group_size: 1
    .uses_dynamic_stack: false
    .vgpr_count:     16
    .vgpr_spill_count: 0
    .wavefront_size: 32
    .workgroup_processor_mode: 1
amdhsa.target:   amdgcn-amd-amdhsa--gfx1100
amdhsa.version:
  - 1
  - 2
...

	.end_amdgpu_metadata
